;; amdgpu-corpus repo=ROCm/rocFFT kind=compiled arch=gfx1030 opt=O3
	.text
	.amdgcn_target "amdgcn-amd-amdhsa--gfx1030"
	.amdhsa_code_object_version 6
	.protected	fft_rtc_fwd_len680_factors_17_4_10_wgs_204_tpt_68_halfLds_dp_ip_CI_unitstride_sbrr_R2C_dirReg ; -- Begin function fft_rtc_fwd_len680_factors_17_4_10_wgs_204_tpt_68_halfLds_dp_ip_CI_unitstride_sbrr_R2C_dirReg
	.globl	fft_rtc_fwd_len680_factors_17_4_10_wgs_204_tpt_68_halfLds_dp_ip_CI_unitstride_sbrr_R2C_dirReg
	.p2align	8
	.type	fft_rtc_fwd_len680_factors_17_4_10_wgs_204_tpt_68_halfLds_dp_ip_CI_unitstride_sbrr_R2C_dirReg,@function
fft_rtc_fwd_len680_factors_17_4_10_wgs_204_tpt_68_halfLds_dp_ip_CI_unitstride_sbrr_R2C_dirReg: ; @fft_rtc_fwd_len680_factors_17_4_10_wgs_204_tpt_68_halfLds_dp_ip_CI_unitstride_sbrr_R2C_dirReg
; %bb.0:
	s_load_dwordx4 s[8:11], s[4:5], 0x0
	v_mul_u32_u24_e32 v1, 0x3c4, v0
	s_clause 0x1
	s_load_dwordx2 s[2:3], s[4:5], 0x50
	s_load_dwordx2 s[12:13], s[4:5], 0x18
	v_mov_b32_e32 v5, 0
	v_mov_b32_e32 v3, 0
	;; [unrolled: 1-line block ×3, first 2 shown]
	v_lshrrev_b32_e32 v1, 16, v1
	v_mad_u64_u32 v[1:2], null, s6, 3, v[1:2]
	v_mov_b32_e32 v2, v5
	v_mov_b32_e32 v10, v2
	;; [unrolled: 1-line block ×3, first 2 shown]
	s_waitcnt lgkmcnt(0)
	v_cmp_lt_u64_e64 s0, s[10:11], 2
	s_and_b32 vcc_lo, exec_lo, s0
	s_cbranch_vccnz .LBB0_8
; %bb.1:
	s_load_dwordx2 s[0:1], s[4:5], 0x10
	v_mov_b32_e32 v3, 0
	v_mov_b32_e32 v8, v2
	s_add_u32 s6, s12, 8
	v_mov_b32_e32 v4, 0
	v_mov_b32_e32 v7, v1
	s_addc_u32 s7, s13, 0
	s_mov_b64 s[16:17], 1
	s_waitcnt lgkmcnt(0)
	s_add_u32 s14, s0, 8
	s_addc_u32 s15, s1, 0
.LBB0_2:                                ; =>This Inner Loop Header: Depth=1
	s_load_dwordx2 s[18:19], s[14:15], 0x0
                                        ; implicit-def: $vgpr9_vgpr10
	s_mov_b32 s0, exec_lo
	s_waitcnt lgkmcnt(0)
	v_or_b32_e32 v6, s19, v8
	v_cmpx_ne_u64_e32 0, v[5:6]
	s_xor_b32 s1, exec_lo, s0
	s_cbranch_execz .LBB0_4
; %bb.3:                                ;   in Loop: Header=BB0_2 Depth=1
	v_cvt_f32_u32_e32 v2, s18
	v_cvt_f32_u32_e32 v6, s19
	s_sub_u32 s0, 0, s18
	s_subb_u32 s20, 0, s19
	v_fmac_f32_e32 v2, 0x4f800000, v6
	v_rcp_f32_e32 v2, v2
	v_mul_f32_e32 v2, 0x5f7ffffc, v2
	v_mul_f32_e32 v6, 0x2f800000, v2
	v_trunc_f32_e32 v6, v6
	v_fmac_f32_e32 v2, 0xcf800000, v6
	v_cvt_u32_f32_e32 v6, v6
	v_cvt_u32_f32_e32 v2, v2
	v_mul_lo_u32 v9, s0, v6
	v_mul_hi_u32 v10, s0, v2
	v_mul_lo_u32 v11, s20, v2
	v_add_nc_u32_e32 v9, v10, v9
	v_mul_lo_u32 v10, s0, v2
	v_add_nc_u32_e32 v9, v9, v11
	v_mul_hi_u32 v11, v2, v10
	v_mul_lo_u32 v12, v2, v9
	v_mul_hi_u32 v13, v2, v9
	v_mul_hi_u32 v14, v6, v10
	v_mul_lo_u32 v10, v6, v10
	v_mul_hi_u32 v15, v6, v9
	v_mul_lo_u32 v9, v6, v9
	v_add_co_u32 v11, vcc_lo, v11, v12
	v_add_co_ci_u32_e32 v12, vcc_lo, 0, v13, vcc_lo
	v_add_co_u32 v10, vcc_lo, v11, v10
	v_add_co_ci_u32_e32 v10, vcc_lo, v12, v14, vcc_lo
	v_add_co_ci_u32_e32 v11, vcc_lo, 0, v15, vcc_lo
	v_add_co_u32 v9, vcc_lo, v10, v9
	v_add_co_ci_u32_e32 v10, vcc_lo, 0, v11, vcc_lo
	v_add_co_u32 v2, vcc_lo, v2, v9
	v_add_co_ci_u32_e32 v6, vcc_lo, v6, v10, vcc_lo
	v_mul_hi_u32 v9, s0, v2
	v_mul_lo_u32 v11, s20, v2
	v_mul_lo_u32 v10, s0, v6
	v_add_nc_u32_e32 v9, v9, v10
	v_mul_lo_u32 v10, s0, v2
	v_add_nc_u32_e32 v9, v9, v11
	v_mul_hi_u32 v11, v2, v10
	v_mul_lo_u32 v12, v2, v9
	v_mul_hi_u32 v13, v2, v9
	v_mul_hi_u32 v14, v6, v10
	v_mul_lo_u32 v10, v6, v10
	v_mul_hi_u32 v15, v6, v9
	v_mul_lo_u32 v9, v6, v9
	v_add_co_u32 v11, vcc_lo, v11, v12
	v_add_co_ci_u32_e32 v12, vcc_lo, 0, v13, vcc_lo
	v_add_co_u32 v10, vcc_lo, v11, v10
	v_add_co_ci_u32_e32 v10, vcc_lo, v12, v14, vcc_lo
	v_add_co_ci_u32_e32 v11, vcc_lo, 0, v15, vcc_lo
	v_add_co_u32 v9, vcc_lo, v10, v9
	v_add_co_ci_u32_e32 v10, vcc_lo, 0, v11, vcc_lo
	v_add_co_u32 v2, vcc_lo, v2, v9
	v_add_co_ci_u32_e32 v6, vcc_lo, v6, v10, vcc_lo
	v_mul_hi_u32 v15, v7, v2
	v_mad_u64_u32 v[11:12], null, v8, v2, 0
	v_mad_u64_u32 v[9:10], null, v7, v6, 0
	v_mad_u64_u32 v[13:14], null, v8, v6, 0
	v_add_co_u32 v2, vcc_lo, v15, v9
	v_add_co_ci_u32_e32 v6, vcc_lo, 0, v10, vcc_lo
	v_add_co_u32 v2, vcc_lo, v2, v11
	v_add_co_ci_u32_e32 v2, vcc_lo, v6, v12, vcc_lo
	v_add_co_ci_u32_e32 v6, vcc_lo, 0, v14, vcc_lo
	v_add_co_u32 v2, vcc_lo, v2, v13
	v_add_co_ci_u32_e32 v6, vcc_lo, 0, v6, vcc_lo
	v_mul_lo_u32 v11, s19, v2
	v_mad_u64_u32 v[9:10], null, s18, v2, 0
	v_mul_lo_u32 v12, s18, v6
	v_sub_co_u32 v9, vcc_lo, v7, v9
	v_add3_u32 v10, v10, v12, v11
	v_sub_nc_u32_e32 v11, v8, v10
	v_subrev_co_ci_u32_e64 v11, s0, s19, v11, vcc_lo
	v_add_co_u32 v12, s0, v2, 2
	v_add_co_ci_u32_e64 v13, s0, 0, v6, s0
	v_sub_co_u32 v14, s0, v9, s18
	v_sub_co_ci_u32_e32 v10, vcc_lo, v8, v10, vcc_lo
	v_subrev_co_ci_u32_e64 v11, s0, 0, v11, s0
	v_cmp_le_u32_e32 vcc_lo, s18, v14
	v_cmp_eq_u32_e64 s0, s19, v10
	v_cndmask_b32_e64 v14, 0, -1, vcc_lo
	v_cmp_le_u32_e32 vcc_lo, s19, v11
	v_cndmask_b32_e64 v15, 0, -1, vcc_lo
	v_cmp_le_u32_e32 vcc_lo, s18, v9
	;; [unrolled: 2-line block ×3, first 2 shown]
	v_cndmask_b32_e64 v16, 0, -1, vcc_lo
	v_cmp_eq_u32_e32 vcc_lo, s19, v11
	v_cndmask_b32_e64 v9, v16, v9, s0
	v_cndmask_b32_e32 v11, v15, v14, vcc_lo
	v_add_co_u32 v14, vcc_lo, v2, 1
	v_add_co_ci_u32_e32 v15, vcc_lo, 0, v6, vcc_lo
	v_cmp_ne_u32_e32 vcc_lo, 0, v11
	v_cndmask_b32_e32 v10, v15, v13, vcc_lo
	v_cndmask_b32_e32 v11, v14, v12, vcc_lo
	v_cmp_ne_u32_e32 vcc_lo, 0, v9
	v_cndmask_b32_e32 v10, v6, v10, vcc_lo
	v_cndmask_b32_e32 v9, v2, v11, vcc_lo
.LBB0_4:                                ;   in Loop: Header=BB0_2 Depth=1
	s_andn2_saveexec_b32 s0, s1
	s_cbranch_execz .LBB0_6
; %bb.5:                                ;   in Loop: Header=BB0_2 Depth=1
	v_cvt_f32_u32_e32 v2, s18
	s_sub_i32 s1, 0, s18
	v_rcp_iflag_f32_e32 v2, v2
	v_mul_f32_e32 v2, 0x4f7ffffe, v2
	v_cvt_u32_f32_e32 v2, v2
	v_mul_lo_u32 v6, s1, v2
	v_mul_hi_u32 v6, v2, v6
	v_add_nc_u32_e32 v2, v2, v6
	v_mul_hi_u32 v2, v7, v2
	v_mul_lo_u32 v6, v2, s18
	v_add_nc_u32_e32 v9, 1, v2
	v_sub_nc_u32_e32 v6, v7, v6
	v_subrev_nc_u32_e32 v10, s18, v6
	v_cmp_le_u32_e32 vcc_lo, s18, v6
	v_cndmask_b32_e32 v6, v6, v10, vcc_lo
	v_cndmask_b32_e32 v2, v2, v9, vcc_lo
	v_mov_b32_e32 v10, v5
	v_cmp_le_u32_e32 vcc_lo, s18, v6
	v_add_nc_u32_e32 v9, 1, v2
	v_cndmask_b32_e32 v9, v2, v9, vcc_lo
.LBB0_6:                                ;   in Loop: Header=BB0_2 Depth=1
	s_or_b32 exec_lo, exec_lo, s0
	s_load_dwordx2 s[0:1], s[6:7], 0x0
	v_mul_lo_u32 v2, v10, s18
	v_mul_lo_u32 v6, v9, s19
	v_mad_u64_u32 v[11:12], null, v9, s18, 0
	s_add_u32 s16, s16, 1
	s_addc_u32 s17, s17, 0
	s_add_u32 s6, s6, 8
	s_addc_u32 s7, s7, 0
	;; [unrolled: 2-line block ×3, first 2 shown]
	v_add3_u32 v2, v12, v6, v2
	v_sub_co_u32 v6, vcc_lo, v7, v11
	v_sub_co_ci_u32_e32 v2, vcc_lo, v8, v2, vcc_lo
	s_waitcnt lgkmcnt(0)
	v_mul_lo_u32 v7, s1, v6
	v_mul_lo_u32 v2, s0, v2
	v_mad_u64_u32 v[3:4], null, s0, v6, v[3:4]
	v_cmp_ge_u64_e64 s0, s[16:17], s[10:11]
	s_and_b32 vcc_lo, exec_lo, s0
	v_add3_u32 v4, v7, v4, v2
	s_cbranch_vccnz .LBB0_8
; %bb.7:                                ;   in Loop: Header=BB0_2 Depth=1
	v_mov_b32_e32 v7, v9
	v_mov_b32_e32 v8, v10
	s_branch .LBB0_2
.LBB0_8:
	s_lshl_b64 s[0:1], s[10:11], 3
	v_mul_hi_u32 v2, 0xaaaaaaab, v1
	s_add_u32 s0, s12, s0
	s_addc_u32 s1, s13, s1
	s_load_dwordx2 s[4:5], s[4:5], 0x20
	s_load_dwordx2 s[0:1], s[0:1], 0x0
	v_mul_hi_u32 v5, 0x3c3c3c4, v0
	v_lshrrev_b32_e32 v2, 1, v2
	v_lshl_add_u32 v6, v2, 1, v2
	v_sub_nc_u32_e32 v1, v1, v6
	s_waitcnt lgkmcnt(0)
	v_cmp_gt_u64_e32 vcc_lo, s[4:5], v[9:10]
	v_mul_lo_u32 v7, s0, v10
	v_mul_lo_u32 v8, s1, v9
	v_mad_u64_u32 v[2:3], null, s0, v9, v[3:4]
	v_mul_u32_u24_e32 v4, 0x44, v5
	v_mul_u32_u24_e32 v1, 0x2a9, v1
	v_sub_nc_u32_e32 v84, v0, v4
	v_add3_u32 v3, v8, v3, v7
	v_lshlrev_b32_e32 v219, 4, v1
	v_lshlrev_b32_e32 v217, 4, v84
	v_lshlrev_b64 v[86:87], 4, v[2:3]
	s_and_saveexec_b32 s1, vcc_lo
	s_cbranch_execz .LBB0_10
; %bb.9:
	v_mov_b32_e32 v85, 0
	v_add_co_u32 v2, s0, s2, v86
	v_add_co_ci_u32_e64 v3, s0, s3, v87, s0
	v_lshlrev_b64 v[0:1], 4, v[84:85]
	v_add3_u32 v40, 0, v219, v217
	v_add_co_u32 v16, s0, v2, v0
	v_add_co_ci_u32_e64 v17, s0, v3, v1, s0
	s_clause 0x1
	global_load_dwordx4 v[0:3], v[16:17], off
	global_load_dwordx4 v[4:7], v[16:17], off offset:1088
	v_add_co_u32 v12, s0, 0x800, v16
	v_add_co_ci_u32_e64 v13, s0, 0, v17, s0
	v_add_co_u32 v20, s0, 0x1000, v16
	v_add_co_ci_u32_e64 v21, s0, 0, v17, s0
	v_add_co_u32 v28, s0, 0x1800, v16
	v_add_co_ci_u32_e64 v29, s0, 0, v17, s0
	v_add_co_u32 v36, s0, 0x2000, v16
	v_add_co_ci_u32_e64 v37, s0, 0, v17, s0
	s_clause 0x7
	global_load_dwordx4 v[8:11], v[12:13], off offset:128
	global_load_dwordx4 v[12:15], v[12:13], off offset:1216
	;; [unrolled: 1-line block ×8, first 2 shown]
	s_waitcnt vmcnt(9)
	ds_write_b128 v40, v[0:3]
	s_waitcnt vmcnt(8)
	ds_write_b128 v40, v[4:7] offset:1088
	s_waitcnt vmcnt(7)
	ds_write_b128 v40, v[8:11] offset:2176
	;; [unrolled: 2-line block ×9, first 2 shown]
.LBB0_10:
	s_or_b32 exec_lo, exec_lo, s1
	v_add3_u32 v85, 0, v217, v219
	s_waitcnt lgkmcnt(0)
	s_barrier
	buffer_gl0_inv
	v_add_nc_u32_e32 v218, 0, v219
	ds_read_b128 v[16:19], v85 offset:10240
	ds_read_b128 v[32:35], v85 offset:640
	s_mov_b32 s12, 0x6c9a05f6
	s_mov_b32 s13, 0xbfe9895b
	;; [unrolled: 1-line block ×3, first 2 shown]
	v_add_nc_u32_e32 v216, v218, v217
	ds_read_b128 v[24:27], v85 offset:9600
	ds_read_b128 v[36:39], v85 offset:1280
	ds_read_b128 v[20:23], v216
	ds_read_b128 v[56:59], v85 offset:1920
	ds_read_b128 v[28:31], v85 offset:8960
	s_mov_b32 s6, 0x923c349f
	s_mov_b32 s22, 0x4363dd80
	;; [unrolled: 1-line block ×7, first 2 shown]
	ds_read_b128 v[40:43], v85 offset:8320
	ds_read_b128 v[72:75], v85 offset:2560
	s_mov_b32 s10, 0xc61f0d01
	s_mov_b32 s20, 0x5d8e7cdc
	s_waitcnt lgkmcnt(7)
	v_add_f64 v[120:121], v[34:35], -v[18:19]
	v_add_f64 v[122:123], v[32:33], -v[16:17]
	v_add_f64 v[140:141], v[32:33], v[16:17]
	v_add_f64 v[146:147], v[34:35], v[18:19]
	s_mov_b32 s16, 0x910ea3b9
	s_mov_b32 s34, 0x7faef3
	s_waitcnt lgkmcnt(5)
	v_add_f64 v[96:97], v[38:39], -v[26:27]
	v_add_f64 v[88:89], v[36:37], -v[24:25]
	v_add_f64 v[90:91], v[36:37], v[24:25]
	v_add_f64 v[112:113], v[38:39], v[26:27]
	s_waitcnt lgkmcnt(2)
	v_add_f64 v[92:93], v[56:57], -v[28:29]
	s_mov_b32 s42, 0x7c9e640b
	s_mov_b32 s11, 0xbfd183b1
	;; [unrolled: 1-line block ×8, first 2 shown]
	v_add_f64 v[106:107], v[58:59], -v[30:31]
	v_add_f64 v[114:115], v[58:59], v[30:31]
	s_waitcnt lgkmcnt(0)
	v_add_f64 v[100:101], v[72:73], -v[40:41]
	v_mul_f64 v[148:149], v[120:121], s[12:13]
	v_mul_f64 v[150:151], v[122:123], s[12:13]
	;; [unrolled: 1-line block ×13, first 2 shown]
	ds_read_b128 v[68:71], v85 offset:3200
	ds_read_b128 v[44:47], v85 offset:7680
	s_mov_b32 s14, 0x370991
	s_mov_b32 s36, 0xeb564b22
	;; [unrolled: 1-line block ×6, first 2 shown]
	v_add_f64 v[94:95], v[56:57], v[28:29]
	v_add_f64 v[118:119], v[74:75], -v[42:43]
	v_fma_f64 v[0:1], v[140:141], s[4:5], v[148:149]
	v_fma_f64 v[2:3], v[146:147], s[4:5], -v[150:151]
	v_fma_f64 v[12:13], v[140:141], s[16:17], v[172:173]
	v_fma_f64 v[14:15], v[146:147], s[16:17], -v[176:177]
	v_fma_f64 v[80:81], v[140:141], s[34:35], -v[4:5]
	v_fma_f64 v[82:83], v[146:147], s[34:35], v[6:7]
	v_fma_f64 v[8:9], v[90:91], s[10:11], v[154:155]
	v_fma_f64 v[10:11], v[112:113], s[10:11], -v[156:157]
	v_fma_f64 v[4:5], v[140:141], s[34:35], v[4:5]
	v_fma_f64 v[6:7], v[146:147], s[34:35], -v[6:7]
	v_mul_f64 v[160:161], v[106:107], s[18:19]
	v_mul_f64 v[174:175], v[106:107], s[36:37]
	;; [unrolled: 1-line block ×5, first 2 shown]
	v_fma_f64 v[128:129], v[90:91], s[14:15], -v[76:77]
	v_fma_f64 v[134:135], v[112:113], s[14:15], v[78:79]
	v_fma_f64 v[76:77], v[90:91], s[14:15], v[76:77]
	v_fma_f64 v[78:79], v[112:113], s[14:15], -v[78:79]
	v_add_f64 v[130:131], v[74:75], v[42:43]
	s_waitcnt lgkmcnt(0)
	v_add_f64 v[104:105], v[68:69], -v[44:45]
	v_mul_f64 v[166:167], v[100:101], s[22:23]
	v_add_f64 v[0:1], v[20:21], v[0:1]
	v_add_f64 v[2:3], v[22:23], v[2:3]
	;; [unrolled: 1-line block ×6, first 2 shown]
	v_fma_f64 v[110:111], v[114:115], s[14:15], -v[162:163]
	s_mov_b32 s24, 0x3259b75e
	v_add_f64 v[4:5], v[20:21], v[4:5]
	v_add_f64 v[6:7], v[22:23], v[6:7]
	s_mov_b32 s28, 0x2a9d6da3
	s_mov_b32 s25, 0x3fb79ee6
	;; [unrolled: 1-line block ×7, first 2 shown]
	v_add_f64 v[98:99], v[72:73], v[40:41]
	v_add_f64 v[124:125], v[70:71], -v[46:47]
	v_mul_f64 v[164:165], v[118:119], s[22:23]
	v_fma_f64 v[108:109], v[94:95], s[14:15], v[160:161]
	v_mul_f64 v[188:189], v[118:119], s[46:47]
	v_add_f64 v[0:1], v[8:9], v[0:1]
	v_add_f64 v[2:3], v[10:11], v[2:3]
	v_fma_f64 v[8:9], v[90:91], s[40:41], v[168:169]
	v_fma_f64 v[10:11], v[112:113], s[40:41], -v[170:171]
	v_mul_f64 v[190:191], v[100:101], s[46:47]
	v_fma_f64 v[144:145], v[94:95], s[24:25], v[174:175]
	v_fma_f64 v[152:153], v[114:115], s[24:25], -v[184:185]
	v_fma_f64 v[158:159], v[94:95], s[16:17], -v[116:117]
	v_fma_f64 v[192:193], v[114:115], s[16:17], v[126:127]
	v_add_f64 v[80:81], v[128:129], v[80:81]
	v_add_f64 v[82:83], v[134:135], v[82:83]
	v_fma_f64 v[116:117], v[94:95], s[16:17], v[116:117]
	v_fma_f64 v[126:127], v[114:115], s[16:17], -v[126:127]
	v_add_f64 v[4:5], v[76:77], v[4:5]
	v_add_f64 v[6:7], v[78:79], v[6:7]
	v_add_f64 v[132:133], v[70:71], v[46:47]
	v_mul_f64 v[180:181], v[104:105], s[26:27]
	v_fma_f64 v[142:143], v[130:131], s[16:17], -v[166:167]
	ds_read_b128 v[64:67], v85 offset:3840
	ds_read_b128 v[60:63], v85 offset:4480
	;; [unrolled: 1-line block ×4, first 2 shown]
	s_mov_b32 s30, 0x75d4884
	s_mov_b32 s31, 0x3fe7a5f6
	v_add_f64 v[102:103], v[68:69], v[44:45]
	v_mul_f64 v[178:179], v[124:125], s[26:27]
	v_add_f64 v[2:3], v[110:111], v[2:3]
	v_add_f64 v[8:9], v[8:9], v[12:13]
	v_add_f64 v[10:11], v[10:11], v[14:15]
	v_mul_f64 v[12:13], v[118:119], s[28:29]
	v_mul_f64 v[14:15], v[100:101], s[28:29]
	v_fma_f64 v[138:139], v[98:99], s[16:17], v[164:165]
	v_add_f64 v[0:1], v[108:109], v[0:1]
	v_fma_f64 v[134:135], v[98:99], s[4:5], v[188:189]
	v_fma_f64 v[194:195], v[130:131], s[4:5], -v[190:191]
	v_mul_f64 v[196:197], v[124:125], s[18:19]
	v_mul_f64 v[202:203], v[104:105], s[18:19]
	v_add_f64 v[158:159], v[158:159], v[80:81]
	v_add_f64 v[192:193], v[192:193], v[82:83]
	v_mul_f64 v[198:199], v[124:125], s[12:13]
	s_waitcnt lgkmcnt(1)
	v_add_f64 v[136:137], v[66:67], -v[50:51]
	v_add_f64 v[108:109], v[64:65], -v[48:49]
	v_mul_f64 v[200:201], v[104:105], s[12:13]
	v_add_f64 v[4:5], v[116:117], v[4:5]
	v_add_f64 v[6:7], v[126:127], v[6:7]
	v_fma_f64 v[76:77], v[132:133], s[24:25], -v[180:181]
	s_mov_b32 s39, 0xbfe58eea
	s_mov_b32 s38, s28
	v_add_f64 v[2:3], v[142:143], v[2:3]
	v_add_f64 v[8:9], v[144:145], v[8:9]
	;; [unrolled: 1-line block ×3, first 2 shown]
	v_fma_f64 v[144:145], v[98:99], s[30:31], -v[12:13]
	v_fma_f64 v[152:153], v[130:131], s[30:31], v[14:15]
	v_fma_f64 v[12:13], v[98:99], s[30:31], v[12:13]
	v_fma_f64 v[14:15], v[130:131], s[30:31], -v[14:15]
	v_add_f64 v[110:111], v[64:65], v[48:49]
	v_fma_f64 v[128:129], v[102:103], s[24:25], v[178:179]
	v_add_f64 v[0:1], v[138:139], v[0:1]
	v_add_f64 v[138:139], v[66:67], v[50:51]
	s_waitcnt lgkmcnt(0)
	v_add_f64 v[142:143], v[62:63], -v[54:55]
	v_add_f64 v[116:117], v[60:61], -v[52:53]
	v_fma_f64 v[208:209], v[132:133], s[14:15], -v[202:203]
	v_mul_f64 v[182:183], v[136:137], s[38:39]
	v_mul_f64 v[186:187], v[108:109], s[38:39]
	;; [unrolled: 1-line block ×4, first 2 shown]
	v_fma_f64 v[222:223], v[102:103], s[4:5], -v[198:199]
	v_fma_f64 v[224:225], v[132:133], s[4:5], v[200:201]
	v_mul_f64 v[226:227], v[136:137], s[42:43]
	v_mul_f64 v[228:229], v[108:109], s[42:43]
	v_add_f64 v[2:3], v[76:77], v[2:3]
	v_add_f64 v[8:9], v[134:135], v[8:9]
	v_add_f64 v[10:11], v[194:195], v[10:11]
	v_fma_f64 v[134:135], v[102:103], s[14:15], v[196:197]
	v_add_f64 v[158:159], v[144:145], v[158:159]
	v_add_f64 v[220:221], v[152:153], v[192:193]
	;; [unrolled: 1-line block ×4, first 2 shown]
	v_fma_f64 v[12:13], v[102:103], s[4:5], v[198:199]
	v_fma_f64 v[14:15], v[132:133], s[4:5], -v[200:201]
	ds_read_b128 v[80:83], v85 offset:5120
	ds_read_b128 v[76:79], v85 offset:5760
	s_mov_b32 s49, 0xbfeec746
	s_mov_b32 s48, s6
	v_add_f64 v[0:1], v[128:129], v[0:1]
	v_fma_f64 v[212:213], v[110:111], s[30:31], v[182:183]
	v_fma_f64 v[214:215], v[138:139], s[30:31], -v[186:187]
	v_add_f64 v[126:127], v[60:61], v[52:53]
	v_mul_f64 v[192:193], v[142:143], s[44:45]
	v_add_f64 v[152:153], v[62:63], v[54:55]
	v_mul_f64 v[194:195], v[116:117], s[44:45]
	v_fma_f64 v[230:231], v[110:111], s[34:35], v[204:205]
	v_fma_f64 v[232:233], v[138:139], s[34:35], -v[206:207]
	v_mul_f64 v[210:211], v[116:117], s[28:29]
	v_fma_f64 v[234:235], v[138:139], s[40:41], v[228:229]
	v_add_f64 v[10:11], v[208:209], v[10:11]
	v_add_f64 v[8:9], v[134:135], v[8:9]
	v_mul_f64 v[208:209], v[142:143], s[28:29]
	v_add_f64 v[222:223], v[222:223], v[158:159]
	v_add_f64 v[220:221], v[224:225], v[220:221]
	v_fma_f64 v[224:225], v[110:111], s[40:41], -v[226:227]
	s_waitcnt lgkmcnt(0)
	v_add_f64 v[144:145], v[82:83], -v[78:79]
	v_add_f64 v[128:129], v[80:81], -v[76:77]
	v_mul_f64 v[236:237], v[142:143], s[48:49]
	v_mul_f64 v[238:239], v[116:117], s[48:49]
	v_add_f64 v[4:5], v[12:13], v[4:5]
	v_add_f64 v[6:7], v[14:15], v[6:7]
	v_fma_f64 v[12:13], v[110:111], s[40:41], v[226:227]
	v_fma_f64 v[14:15], v[138:139], s[40:41], -v[228:229]
	v_add_f64 v[0:1], v[212:213], v[0:1]
	v_add_f64 v[2:3], v[214:215], v[2:3]
	v_fma_f64 v[226:227], v[126:127], s[34:35], v[192:193]
	v_fma_f64 v[228:229], v[152:153], s[34:35], -v[194:195]
	v_add_f64 v[134:135], v[80:81], v[76:77]
	v_add_f64 v[158:159], v[82:83], v[78:79]
	s_mov_b32 s33, exec_lo
	v_add_f64 v[10:11], v[232:233], v[10:11]
	v_add_f64 v[8:9], v[230:231], v[8:9]
	v_fma_f64 v[230:231], v[126:127], s[30:31], v[208:209]
	v_fma_f64 v[232:233], v[152:153], s[30:31], -v[210:211]
	v_add_f64 v[220:221], v[234:235], v[220:221]
	v_add_f64 v[222:223], v[224:225], v[222:223]
	v_mul_f64 v[198:199], v[144:145], s[42:43]
	v_mul_f64 v[200:201], v[128:129], s[42:43]
	;; [unrolled: 1-line block ×4, first 2 shown]
	v_fma_f64 v[224:225], v[126:127], s[10:11], -v[236:237]
	v_fma_f64 v[234:235], v[152:153], s[10:11], v[238:239]
	v_mul_f64 v[240:241], v[144:145], s[26:27]
	v_mul_f64 v[242:243], v[128:129], s[26:27]
	v_add_f64 v[4:5], v[12:13], v[4:5]
	v_add_f64 v[6:7], v[14:15], v[6:7]
	v_fma_f64 v[12:13], v[126:127], s[10:11], v[236:237]
	v_fma_f64 v[14:15], v[152:153], s[10:11], -v[238:239]
	v_add_f64 v[0:1], v[226:227], v[0:1]
	v_add_f64 v[2:3], v[228:229], v[2:3]
	s_barrier
	buffer_gl0_inv
	v_add_f64 v[8:9], v[230:231], v[8:9]
	v_add_f64 v[10:11], v[232:233], v[10:11]
	v_fma_f64 v[226:227], v[134:135], s[40:41], v[198:199]
	v_fma_f64 v[228:229], v[158:159], s[40:41], -v[200:201]
	v_fma_f64 v[230:231], v[134:135], s[10:11], v[212:213]
	v_fma_f64 v[232:233], v[158:159], s[10:11], -v[214:215]
	v_add_f64 v[222:223], v[224:225], v[222:223]
	v_add_f64 v[220:221], v[234:235], v[220:221]
	v_fma_f64 v[224:225], v[134:135], s[24:25], -v[240:241]
	v_fma_f64 v[234:235], v[158:159], s[24:25], v[242:243]
	v_fma_f64 v[236:237], v[134:135], s[24:25], v[240:241]
	v_fma_f64 v[238:239], v[158:159], s[24:25], -v[242:243]
	v_add_f64 v[4:5], v[12:13], v[4:5]
	v_add_f64 v[6:7], v[14:15], v[6:7]
	;; [unrolled: 1-line block ×10, first 2 shown]
	v_cmpx_gt_u32_e32 40, v84
	s_cbranch_execz .LBB0_12
; %bb.11:
	v_add_f64 v[34:35], v[22:23], v[34:35]
	v_add_f64 v[32:33], v[20:21], v[32:33]
	s_mov_b32 s1, 0xbfeca52d
	s_mov_b32 s0, s42
	;; [unrolled: 1-line block ×6, first 2 shown]
	v_mul_f64 v[220:221], v[142:143], s[36:37]
	v_mul_f64 v[222:223], v[158:159], s[16:17]
	;; [unrolled: 1-line block ×14, first 2 shown]
	v_add_f64 v[34:35], v[34:35], v[38:39]
	v_add_f64 v[32:33], v[32:33], v[36:37]
	v_mul_f64 v[38:39], v[146:147], s[30:31]
	v_mul_f64 v[36:37], v[146:147], s[40:41]
	;; [unrolled: 1-line block ×4, first 2 shown]
	v_add_f64 v[34:35], v[34:35], v[58:59]
	v_add_f64 v[32:33], v[32:33], v[56:57]
	v_mul_f64 v[56:57], v[120:121], s[38:39]
	v_mul_f64 v[58:59], v[120:121], s[18:19]
	v_add_f64 v[34:35], v[34:35], v[74:75]
	v_add_f64 v[32:33], v[32:33], v[72:73]
	;; [unrolled: 1-line block ×4, first 2 shown]
	v_fma_f64 v[68:69], v[140:141], s[14:15], -v[58:59]
	v_fma_f64 v[58:59], v[140:141], s[14:15], v[58:59]
	v_add_f64 v[34:35], v[34:35], v[66:67]
	v_add_f64 v[32:33], v[32:33], v[64:65]
	v_fma_f64 v[66:67], v[140:141], s[30:31], -v[56:57]
	v_fma_f64 v[56:57], v[140:141], s[30:31], v[56:57]
	v_add_f64 v[34:35], v[34:35], v[62:63]
	v_add_f64 v[32:33], v[32:33], v[60:61]
	v_mul_f64 v[60:61], v[120:121], s[0:1]
	v_add_f64 v[34:35], v[34:35], v[82:83]
	v_add_f64 v[32:33], v[32:33], v[80:81]
	v_fma_f64 v[70:71], v[140:141], s[40:41], v[60:61]
	v_fma_f64 v[60:61], v[140:141], s[40:41], -v[60:61]
	v_add_f64 v[82:83], v[20:21], v[58:59]
	v_mul_f64 v[58:59], v[102:103], s[14:15]
	v_add_f64 v[34:35], v[34:35], v[78:79]
	v_add_f64 v[32:33], v[32:33], v[76:77]
	v_add_f64 v[58:59], v[58:59], -v[196:197]
	v_mul_f64 v[196:197], v[96:97], s[12:13]
	v_add_f64 v[34:35], v[34:35], v[54:55]
	v_add_f64 v[32:33], v[32:33], v[52:53]
	v_mul_f64 v[54:55], v[120:121], s[36:37]
	v_mul_f64 v[52:53], v[120:121], s[48:49]
	;; [unrolled: 1-line block ×3, first 2 shown]
	v_add_f64 v[34:35], v[34:35], v[50:51]
	v_add_f64 v[32:33], v[32:33], v[48:49]
	v_fma_f64 v[48:49], v[122:123], s[38:39], v[38:39]
	v_fma_f64 v[38:39], v[122:123], s[28:29], v[38:39]
	;; [unrolled: 1-line block ×3, first 2 shown]
	v_fma_f64 v[54:55], v[140:141], s[24:25], -v[54:55]
	v_fma_f64 v[62:63], v[140:141], s[10:11], v[52:53]
	v_fma_f64 v[52:53], v[140:141], s[10:11], -v[52:53]
	v_add_f64 v[120:121], v[206:207], v[120:121]
	v_mul_f64 v[206:207], v[132:133], s[30:31]
	v_add_f64 v[34:35], v[34:35], v[46:47]
	v_add_f64 v[32:33], v[32:33], v[44:45]
	v_fma_f64 v[46:47], v[122:123], s[42:43], v[36:37]
	v_fma_f64 v[36:37], v[122:123], s[0:1], v[36:37]
	v_add_f64 v[64:65], v[20:21], v[64:65]
	v_add_f64 v[62:63], v[20:21], v[62:63]
	;; [unrolled: 1-line block ×5, first 2 shown]
	v_mul_f64 v[40:41], v[146:147], s[14:15]
	v_add_f64 v[78:79], v[22:23], v[46:47]
	v_add_f64 v[36:37], v[22:23], v[36:37]
	;; [unrolled: 1-line block ×5, first 2 shown]
	v_mul_f64 v[70:71], v[98:99], s[4:5]
	v_add_f64 v[30:31], v[34:35], v[30:31]
	v_add_f64 v[28:29], v[32:33], v[28:29]
	v_mul_f64 v[32:33], v[146:147], s[10:11]
	v_mul_f64 v[34:35], v[146:147], s[24:25]
	v_fma_f64 v[50:51], v[122:123], s[18:19], v[40:41]
	v_fma_f64 v[40:41], v[122:123], s[20:21], v[40:41]
	v_add_f64 v[70:71], v[70:71], -v[188:189]
	v_mul_f64 v[188:189], v[152:153], s[40:41]
	v_add_f64 v[26:27], v[30:31], v[26:27]
	v_add_f64 v[24:25], v[28:29], v[24:25]
	v_fma_f64 v[42:43], v[122:123], s[48:49], v[32:33]
	v_fma_f64 v[44:45], v[122:123], s[26:27], v[34:35]
	v_fma_f64 v[34:35], v[122:123], s[36:37], v[34:35]
	v_mul_f64 v[28:29], v[146:147], s[4:5]
	v_fma_f64 v[32:33], v[122:123], s[6:7], v[32:33]
	v_add_f64 v[80:81], v[22:23], v[40:41]
	v_mul_f64 v[40:41], v[112:113], s[40:41]
	v_mul_f64 v[30:31], v[140:141], s[4:5]
	;; [unrolled: 1-line block ×3, first 2 shown]
	v_add_f64 v[18:19], v[26:27], v[18:19]
	v_add_f64 v[16:17], v[24:25], v[16:17]
	v_mul_f64 v[24:25], v[146:147], s[16:17]
	v_mul_f64 v[26:27], v[140:141], s[16:17]
	v_add_f64 v[72:73], v[22:23], v[42:43]
	v_add_f64 v[42:43], v[22:23], v[34:35]
	;; [unrolled: 1-line block ×3, first 2 shown]
	v_mul_f64 v[50:51], v[90:91], s[40:41]
	v_add_f64 v[28:29], v[150:151], v[28:29]
	v_add_f64 v[74:75], v[22:23], v[32:33]
	;; [unrolled: 1-line block ×9, first 2 shown]
	v_mul_f64 v[54:55], v[114:115], s[24:25]
	v_mul_f64 v[60:61], v[94:95], s[24:25]
	v_add_f64 v[30:31], v[30:31], -v[148:149]
	v_mul_f64 v[140:141], v[106:107], s[0:1]
	v_mul_f64 v[146:147], v[130:131], s[24:25]
	;; [unrolled: 1-line block ×4, first 2 shown]
	v_add_f64 v[24:25], v[176:177], v[24:25]
	v_add_f64 v[26:27], v[26:27], -v[172:173]
	v_mul_f64 v[170:171], v[96:97], s[36:37]
	v_mul_f64 v[172:173], v[114:115], s[4:5]
	;; [unrolled: 1-line block ×3, first 2 shown]
	v_add_f64 v[50:51], v[50:51], -v[168:169]
	v_add_f64 v[28:29], v[22:23], v[28:29]
	v_mul_f64 v[168:169], v[144:145], s[44:45]
	v_add_f64 v[54:55], v[184:185], v[54:55]
	v_add_f64 v[60:61], v[60:61], -v[174:175]
	v_add_f64 v[30:31], v[20:21], v[30:31]
	v_mul_f64 v[174:175], v[106:107], s[12:13]
	v_mul_f64 v[184:185], v[138:139], s[10:11]
	v_add_f64 v[24:25], v[22:23], v[24:25]
	v_add_f64 v[26:27], v[20:21], v[26:27]
	v_mul_f64 v[22:23], v[130:131], s[4:5]
	v_mul_f64 v[20:21], v[132:133], s[14:15]
	v_add_f64 v[24:25], v[40:41], v[24:25]
	v_add_f64 v[26:27], v[50:51], v[26:27]
	;; [unrolled: 1-line block ×4, first 2 shown]
	v_mul_f64 v[40:41], v[110:111], s[34:35]
	v_mul_f64 v[50:51], v[152:153], s[30:31]
	;; [unrolled: 1-line block ×4, first 2 shown]
	v_add_f64 v[24:25], v[54:55], v[24:25]
	v_add_f64 v[26:27], v[60:61], v[26:27]
	v_mul_f64 v[54:55], v[130:131], s[16:17]
	v_mul_f64 v[60:61], v[132:133], s[24:25]
	v_add_f64 v[40:41], v[40:41], -v[204:205]
	v_add_f64 v[50:51], v[210:211], v[50:51]
	v_mul_f64 v[204:205], v[118:119], s[6:7]
	v_mul_f64 v[210:211], v[138:139], s[14:15]
	v_add_f64 v[22:23], v[22:23], v[24:25]
	v_add_f64 v[24:25], v[70:71], v[26:27]
	v_mul_f64 v[26:27], v[126:127], s[30:31]
	v_add_f64 v[54:55], v[166:167], v[54:55]
	v_mul_f64 v[70:71], v[102:103], s[24:25]
	;; [unrolled: 2-line block ×3, first 2 shown]
	v_mul_f64 v[180:181], v[132:133], s[16:17]
	v_add_f64 v[20:21], v[20:21], v[22:23]
	v_add_f64 v[22:23], v[58:59], v[24:25]
	v_add_f64 v[26:27], v[26:27], -v[208:209]
	v_mul_f64 v[24:25], v[158:159], s[10:11]
	v_mul_f64 v[58:59], v[98:99], s[16:17]
	v_add_f64 v[70:71], v[70:71], -v[178:179]
	v_mul_f64 v[178:179], v[118:119], s[44:45]
	v_mul_f64 v[208:209], v[124:125], s[28:29]
	;; [unrolled: 1-line block ×3, first 2 shown]
	v_add_f64 v[20:21], v[120:121], v[20:21]
	v_add_f64 v[22:23], v[40:41], v[22:23]
	v_mul_f64 v[40:41], v[134:135], s[10:11]
	v_add_f64 v[24:25], v[214:215], v[24:25]
	v_add_f64 v[58:59], v[58:59], -v[164:165]
	v_mul_f64 v[120:121], v[138:139], s[30:31]
	v_mul_f64 v[164:165], v[142:143], s[22:23]
	;; [unrolled: 1-line block ×3, first 2 shown]
	v_add_f64 v[20:21], v[50:51], v[20:21]
	v_add_f64 v[26:27], v[26:27], v[22:23]
	v_add_f64 v[40:41], v[40:41], -v[212:213]
	v_mul_f64 v[50:51], v[94:95], s[14:15]
	v_mul_f64 v[212:213], v[136:137], s[18:19]
	v_add_f64 v[120:121], v[186:187], v[120:121]
	v_mul_f64 v[186:187], v[136:137], s[6:7]
	v_add_f64 v[22:23], v[24:25], v[20:21]
	;; [unrolled: 2-line block ×3, first 2 shown]
	v_mul_f64 v[26:27], v[90:91], s[10:11]
	v_mul_f64 v[40:41], v[114:115], s[14:15]
	v_add_f64 v[50:51], v[50:51], -v[160:161]
	v_mul_f64 v[160:161], v[136:137], s[12:13]
	v_add_f64 v[24:25], v[156:157], v[24:25]
	v_mul_f64 v[156:157], v[138:139], s[4:5]
	v_add_f64 v[26:27], v[26:27], -v[154:155]
	v_add_f64 v[40:41], v[162:163], v[40:41]
	v_mul_f64 v[154:155], v[124:125], s[48:49]
	v_mul_f64 v[162:163], v[152:153], s[16:17]
	v_add_f64 v[24:25], v[24:25], v[28:29]
	v_mul_f64 v[28:29], v[110:111], s[30:31]
	v_add_f64 v[26:27], v[26:27], v[30:31]
	;; [unrolled: 2-line block ×3, first 2 shown]
	v_add_f64 v[28:29], v[28:29], -v[182:183]
	v_add_f64 v[26:27], v[50:51], v[26:27]
	v_mul_f64 v[40:41], v[126:127], s[34:35]
	v_add_f64 v[30:31], v[194:195], v[30:31]
	v_mul_f64 v[50:51], v[158:159], s[40:41]
	v_mul_f64 v[182:183], v[124:125], s[50:51]
	;; [unrolled: 1-line block ×4, first 2 shown]
	v_add_f64 v[24:25], v[54:55], v[24:25]
	v_mul_f64 v[54:55], v[112:113], s[34:35]
	v_add_f64 v[26:27], v[58:59], v[26:27]
	v_add_f64 v[40:41], v[40:41], -v[192:193]
	v_mul_f64 v[192:193], v[158:159], s[14:15]
	v_add_f64 v[50:51], v[200:201], v[50:51]
	v_mul_f64 v[58:59], v[112:113], s[4:5]
	v_mul_f64 v[200:201], v[106:107], s[52:53]
	;; [unrolled: 1-line block ×3, first 2 shown]
	v_add_f64 v[24:25], v[60:61], v[24:25]
	v_mul_f64 v[60:61], v[112:113], s[24:25]
	v_add_f64 v[26:27], v[70:71], v[26:27]
	v_mul_f64 v[70:71], v[112:113], s[30:31]
	;; [unrolled: 2-line block ×4, first 2 shown]
	v_mul_f64 v[96:97], v[96:97], s[50:51]
	v_add_f64 v[24:25], v[30:31], v[24:25]
	v_add_f64 v[30:31], v[40:41], v[26:27]
	v_add_f64 v[28:29], v[28:29], -v[198:199]
	v_fma_f64 v[40:41], v[92:93], s[12:13], v[172:173]
	v_mul_f64 v[198:199], v[114:115], s[34:35]
	v_add_f64 v[26:27], v[50:51], v[24:25]
	v_mul_f64 v[50:51], v[114:115], s[30:31]
	v_add_f64 v[24:25], v[28:29], v[30:31]
	v_fma_f64 v[28:29], v[88:89], s[38:39], v[70:71]
	v_fma_f64 v[30:31], v[90:91], s[30:31], -v[120:121]
	v_add_f64 v[28:29], v[28:29], v[34:35]
	v_fma_f64 v[34:35], v[92:93], s[0:1], v[122:123]
	v_add_f64 v[30:31], v[30:31], v[46:47]
	v_fma_f64 v[46:47], v[92:93], s[28:29], v[50:51]
	v_fma_f64 v[50:51], v[92:93], s[38:39], v[50:51]
	v_add_f64 v[28:29], v[34:35], v[28:29]
	v_fma_f64 v[34:35], v[94:95], s[40:41], -v[140:141]
	v_add_f64 v[30:31], v[34:35], v[30:31]
	v_fma_f64 v[34:35], v[100:101], s[36:37], v[146:147]
	v_add_f64 v[28:29], v[34:35], v[28:29]
	v_fma_f64 v[34:35], v[98:99], s[24:25], -v[148:149]
	v_add_f64 v[30:31], v[34:35], v[30:31]
	;; [unrolled: 4-line block ×6, first 2 shown]
	v_fma_f64 v[34:35], v[88:89], s[36:37], v[60:61]
	v_fma_f64 v[60:61], v[88:89], s[26:27], v[60:61]
	v_add_f64 v[32:33], v[34:35], v[32:33]
	v_fma_f64 v[34:35], v[90:91], s[24:25], -v[170:171]
	v_add_f64 v[60:61], v[60:61], v[66:67]
	v_fma_f64 v[66:67], v[134:135], s[14:15], v[194:195]
	v_add_f64 v[32:33], v[40:41], v[32:33]
	v_add_f64 v[34:35], v[34:35], v[48:49]
	v_fma_f64 v[40:41], v[94:95], s[4:5], -v[174:175]
	v_mul_f64 v[48:49], v[112:113], s[16:17]
	v_mul_f64 v[112:113], v[132:133], s[34:35]
	v_add_f64 v[34:35], v[40:41], v[34:35]
	v_fma_f64 v[40:41], v[100:101], s[44:45], v[176:177]
	v_add_f64 v[32:33], v[40:41], v[32:33]
	v_fma_f64 v[40:41], v[98:99], s[34:35], -v[178:179]
	v_add_f64 v[34:35], v[40:41], v[34:35]
	v_fma_f64 v[40:41], v[104:105], s[50:51], v[180:181]
	v_add_f64 v[32:33], v[40:41], v[32:33]
	v_fma_f64 v[40:41], v[102:103], s[16:17], -v[182:183]
	;; [unrolled: 4-line block ×5, first 2 shown]
	v_add_f64 v[32:33], v[32:33], v[40:41]
	v_fma_f64 v[40:41], v[88:89], s[12:13], v[58:59]
	v_fma_f64 v[58:59], v[88:89], s[46:47], v[58:59]
	v_add_f64 v[36:37], v[40:41], v[36:37]
	v_fma_f64 v[40:41], v[90:91], s[4:5], -v[196:197]
	v_add_f64 v[58:59], v[58:59], v[78:79]
	v_add_f64 v[38:39], v[40:41], v[38:39]
	v_fma_f64 v[40:41], v[92:93], s[52:53], v[198:199]
	v_add_f64 v[36:37], v[40:41], v[36:37]
	v_fma_f64 v[40:41], v[94:95], s[34:35], -v[200:201]
	v_add_f64 v[38:39], v[40:41], v[38:39]
	v_fma_f64 v[40:41], v[100:101], s[6:7], v[202:203]
	v_add_f64 v[36:37], v[40:41], v[36:37]
	v_fma_f64 v[40:41], v[98:99], s[10:11], -v[204:205]
	;; [unrolled: 4-line block ×9, first 2 shown]
	v_add_f64 v[42:43], v[44:45], v[42:43]
	v_fma_f64 v[44:45], v[104:105], s[0:1], v[236:237]
	v_add_f64 v[40:41], v[44:45], v[40:41]
	v_fma_f64 v[44:45], v[108:109], s[22:23], v[238:239]
	v_add_f64 v[40:41], v[44:45], v[40:41]
	v_fma_f64 v[44:45], v[102:103], s[40:41], -v[240:241]
	v_add_f64 v[42:43], v[44:45], v[42:43]
	v_fma_f64 v[44:45], v[116:117], s[46:47], v[242:243]
	v_add_f64 v[40:41], v[44:45], v[40:41]
	v_fma_f64 v[44:45], v[110:111], s[16:17], -v[244:245]
	v_add_f64 v[42:43], v[44:45], v[42:43]
	v_fma_f64 v[44:45], v[126:127], s[4:5], -v[246:247]
	v_add_f64 v[44:45], v[44:45], v[42:43]
	v_fma_f64 v[42:43], v[128:129], s[28:29], v[248:249]
	v_add_f64 v[42:43], v[42:43], v[40:41]
	v_fma_f64 v[40:41], v[134:135], s[30:31], -v[250:251]
	v_add_f64 v[40:41], v[40:41], v[44:45]
	v_fma_f64 v[44:45], v[88:89], s[50:51], v[48:49]
	v_fma_f64 v[48:49], v[88:89], s[22:23], v[48:49]
	v_add_f64 v[44:45], v[44:45], v[72:73]
	v_mul_f64 v[72:73], v[130:131], s[40:41]
	v_add_f64 v[48:49], v[48:49], v[74:75]
	v_fma_f64 v[74:75], v[90:91], s[16:17], v[96:97]
	v_add_f64 v[44:45], v[46:47], v[44:45]
	v_fma_f64 v[46:47], v[100:101], s[0:1], v[72:73]
	v_add_f64 v[48:49], v[50:51], v[48:49]
	v_add_f64 v[62:63], v[74:75], v[62:63]
	v_fma_f64 v[50:51], v[94:95], s[30:31], v[106:107]
	v_add_f64 v[44:45], v[46:47], v[44:45]
	v_fma_f64 v[46:47], v[104:105], s[44:45], v[112:113]
	;; [unrolled: 2-line block ×3, first 2 shown]
	v_fma_f64 v[72:73], v[100:101], s[26:27], v[146:147]
	v_add_f64 v[44:45], v[46:47], v[44:45]
	v_fma_f64 v[46:47], v[90:91], s[16:17], -v[96:97]
	v_add_f64 v[48:49], v[62:63], v[48:49]
	v_fma_f64 v[62:63], v[98:99], s[40:41], v[118:119]
	v_add_f64 v[46:47], v[46:47], v[52:53]
	v_mul_f64 v[52:53], v[138:139], s[24:25]
	v_mul_f64 v[138:139], v[158:159], s[4:5]
	v_add_f64 v[50:51], v[62:63], v[50:51]
	v_fma_f64 v[62:63], v[104:105], s[52:53], v[112:113]
	v_fma_f64 v[114:115], v[108:109], s[26:27], v[52:53]
	;; [unrolled: 1-line block ×3, first 2 shown]
	v_add_f64 v[48:49], v[62:63], v[48:49]
	v_fma_f64 v[62:63], v[102:103], s[34:35], v[124:125]
	v_add_f64 v[44:45], v[114:115], v[44:45]
	v_fma_f64 v[114:115], v[94:95], s[30:31], -v[106:107]
	v_add_f64 v[48:49], v[52:53], v[48:49]
	v_add_f64 v[50:51], v[62:63], v[50:51]
	;; [unrolled: 1-line block ×3, first 2 shown]
	v_mul_f64 v[114:115], v[152:153], s[14:15]
	v_fma_f64 v[130:131], v[116:117], s[18:19], v[114:115]
	v_add_f64 v[44:45], v[130:131], v[44:45]
	v_fma_f64 v[130:131], v[98:99], s[40:41], -v[118:119]
	v_add_f64 v[46:47], v[130:131], v[46:47]
	v_fma_f64 v[130:131], v[102:103], s[34:35], -v[124:125]
	v_add_f64 v[46:47], v[130:131], v[46:47]
	v_mul_f64 v[130:131], v[136:137], s[26:27]
	v_fma_f64 v[132:133], v[110:111], s[24:25], -v[130:131]
	v_fma_f64 v[52:53], v[110:111], s[24:25], v[130:131]
	v_add_f64 v[46:47], v[132:133], v[46:47]
	v_mul_f64 v[132:133], v[142:143], s[18:19]
	v_add_f64 v[50:51], v[52:53], v[50:51]
	v_fma_f64 v[52:53], v[116:117], s[20:21], v[114:115]
	v_mul_f64 v[142:143], v[144:145], s[12:13]
	v_fma_f64 v[136:137], v[126:127], s[14:15], -v[132:133]
	v_add_f64 v[48:49], v[52:53], v[48:49]
	v_fma_f64 v[52:53], v[126:127], s[14:15], v[132:133]
	v_fma_f64 v[62:63], v[134:135], s[4:5], v[142:143]
	v_add_f64 v[136:137], v[136:137], v[46:47]
	v_fma_f64 v[46:47], v[128:129], s[12:13], v[138:139]
	v_add_f64 v[52:53], v[52:53], v[50:51]
	;; [unrolled: 2-line block ×3, first 2 shown]
	v_fma_f64 v[44:45], v[134:135], s[4:5], -v[142:143]
	v_add_f64 v[50:51], v[50:51], v[48:49]
	v_add_f64 v[48:49], v[62:63], v[52:53]
	v_fma_f64 v[52:53], v[88:89], s[52:53], v[54:55]
	v_fma_f64 v[54:55], v[90:91], s[34:35], v[226:227]
	;; [unrolled: 1-line block ×3, first 2 shown]
	v_add_f64 v[44:45], v[44:45], v[136:137]
	v_add_f64 v[52:53], v[52:53], v[76:77]
	;; [unrolled: 1-line block ×3, first 2 shown]
	v_fma_f64 v[64:65], v[134:135], s[30:31], v[250:251]
	v_add_f64 v[52:53], v[62:63], v[52:53]
	v_fma_f64 v[62:63], v[94:95], s[10:11], v[230:231]
	v_add_f64 v[54:55], v[62:63], v[54:55]
	;; [unrolled: 2-line block ×11, first 2 shown]
	v_add_f64 v[52:53], v[64:65], v[62:63]
	v_fma_f64 v[62:63], v[90:91], s[4:5], v[196:197]
	v_fma_f64 v[64:65], v[134:135], s[16:17], v[224:225]
	v_add_f64 v[56:57], v[62:63], v[56:57]
	v_fma_f64 v[62:63], v[92:93], s[44:45], v[198:199]
	v_add_f64 v[58:59], v[62:63], v[58:59]
	v_fma_f64 v[62:63], v[94:95], s[34:35], v[200:201]
	v_add_f64 v[56:57], v[62:63], v[56:57]
	v_fma_f64 v[62:63], v[100:101], s[48:49], v[202:203]
	v_add_f64 v[58:59], v[62:63], v[58:59]
	v_fma_f64 v[62:63], v[98:99], s[10:11], v[204:205]
	v_add_f64 v[56:57], v[62:63], v[56:57]
	v_fma_f64 v[62:63], v[104:105], s[38:39], v[206:207]
	v_add_f64 v[58:59], v[62:63], v[58:59]
	v_fma_f64 v[62:63], v[102:103], s[30:31], v[208:209]
	v_add_f64 v[56:57], v[62:63], v[56:57]
	v_fma_f64 v[62:63], v[108:109], s[20:21], v[210:211]
	v_add_f64 v[58:59], v[62:63], v[58:59]
	v_fma_f64 v[62:63], v[110:111], s[14:15], v[212:213]
	v_add_f64 v[56:57], v[62:63], v[56:57]
	v_fma_f64 v[62:63], v[116:117], s[26:27], v[214:215]
	v_add_f64 v[58:59], v[62:63], v[58:59]
	v_fma_f64 v[62:63], v[126:127], s[24:25], v[220:221]
	v_add_f64 v[56:57], v[62:63], v[56:57]
	v_fma_f64 v[62:63], v[128:129], s[50:51], v[222:223]
	v_add_f64 v[56:57], v[64:65], v[56:57]
	v_add_f64 v[58:59], v[62:63], v[58:59]
	v_fma_f64 v[62:63], v[90:91], s[24:25], v[170:171]
	v_fma_f64 v[64:65], v[92:93], s[46:47], v[172:173]
	v_add_f64 v[62:63], v[62:63], v[68:69]
	v_add_f64 v[60:61], v[64:65], v[60:61]
	v_fma_f64 v[64:65], v[94:95], s[4:5], v[174:175]
	v_fma_f64 v[68:69], v[92:93], s[42:43], v[122:123]
	v_add_f64 v[62:63], v[64:65], v[62:63]
	v_fma_f64 v[64:65], v[100:101], s[52:53], v[176:177]
	v_add_f64 v[60:61], v[64:65], v[60:61]
	v_fma_f64 v[64:65], v[98:99], s[34:35], v[178:179]
	v_add_f64 v[62:63], v[64:65], v[62:63]
	v_fma_f64 v[64:65], v[104:105], s[22:23], v[180:181]
	v_add_f64 v[60:61], v[64:65], v[60:61]
	v_fma_f64 v[64:65], v[102:103], s[16:17], v[182:183]
	v_add_f64 v[62:63], v[64:65], v[62:63]
	v_fma_f64 v[64:65], v[108:109], s[48:49], v[184:185]
	v_add_f64 v[60:61], v[64:65], v[60:61]
	v_fma_f64 v[64:65], v[110:111], s[10:11], v[186:187]
	v_add_f64 v[62:63], v[64:65], v[62:63]
	v_fma_f64 v[64:65], v[116:117], s[0:1], v[188:189]
	v_add_f64 v[60:61], v[64:65], v[60:61]
	v_fma_f64 v[64:65], v[126:127], s[40:41], v[190:191]
	v_add_f64 v[64:65], v[64:65], v[62:63]
	v_fma_f64 v[62:63], v[128:129], s[18:19], v[192:193]
	v_add_f64 v[62:63], v[62:63], v[60:61]
	v_add_f64 v[60:61], v[66:67], v[64:65]
	v_fma_f64 v[64:65], v[88:89], s[28:29], v[70:71]
	v_fma_f64 v[66:67], v[90:91], s[30:31], v[120:121]
	;; [unrolled: 1-line block ×3, first 2 shown]
	v_add_f64 v[64:65], v[64:65], v[80:81]
	v_add_f64 v[66:67], v[66:67], v[82:83]
	;; [unrolled: 1-line block ×3, first 2 shown]
	v_fma_f64 v[68:69], v[98:99], s[24:25], v[148:149]
	v_add_f64 v[66:67], v[70:71], v[66:67]
	v_fma_f64 v[70:71], v[104:105], s[6:7], v[150:151]
	v_add_f64 v[64:65], v[72:73], v[64:65]
	;; [unrolled: 2-line block ×9, first 2 shown]
	v_add_f64 v[66:67], v[70:71], v[64:65]
	v_add_f64 v[64:65], v[72:73], v[68:69]
	v_mul_u32_u24_e32 v68, 0x110, v84
	v_add3_u32 v68, 0, v68, v219
	ds_write_b128 v68, v[16:19]
	ds_write_b128 v68, v[28:31] offset:16
	ds_write_b128 v68, v[32:35] offset:32
	;; [unrolled: 1-line block ×16, first 2 shown]
.LBB0_12:
	s_or_b32 exec_lo, exec_lo, s33
	s_waitcnt lgkmcnt(0)
	s_barrier
	buffer_gl0_inv
	ds_read_b128 v[16:19], v216
	ds_read_b128 v[20:23], v85 offset:1088
	ds_read_b128 v[36:39], v85 offset:2720
	;; [unrolled: 1-line block ×7, first 2 shown]
	v_cmp_gt_u32_e64 s0, 34, v84
	s_and_saveexec_b32 s1, s0
	s_cbranch_execz .LBB0_14
; %bb.13:
	ds_read_b128 v[0:3], v85 offset:2176
	ds_read_b128 v[4:7], v85 offset:4896
	ds_read_b128 v[8:11], v85 offset:7616
	ds_read_b128 v[12:15], v85 offset:10336
.LBB0_14:
	s_or_b32 exec_lo, exec_lo, s1
	v_and_b32_e32 v48, 0xff, v84
	v_add_nc_u16 v49, v84, 0x44
	v_mul_lo_u16 v48, 0xf1, v48
	v_and_b32_e32 v50, 0xff, v49
	v_lshrrev_b16 v83, 12, v48
	v_mul_lo_u16 v48, 0xf1, v50
	v_mul_lo_u16 v50, v83, 17
	v_lshrrev_b16 v90, 12, v48
	v_mov_b32_e32 v48, 3
	v_sub_nc_u16 v91, v84, v50
	v_mul_lo_u16 v50, v90, 17
	v_mul_u32_u24_sdwa v51, v91, v48 dst_sel:DWORD dst_unused:UNUSED_PAD src0_sel:BYTE_0 src1_sel:DWORD
	v_sub_nc_u16 v92, v49, v50
	v_lshlrev_b32_e32 v57, 4, v51
	v_mul_u32_u24_sdwa v53, v92, v48 dst_sel:DWORD dst_unused:UNUSED_PAD src0_sel:BYTE_0 src1_sel:DWORD
	global_load_dwordx4 v[49:52], v57, s[8:9]
	v_lshlrev_b32_e32 v69, 4, v53
	s_clause 0x4
	global_load_dwordx4 v[53:56], v57, s[8:9] offset:16
	global_load_dwordx4 v[57:60], v57, s[8:9] offset:32
	global_load_dwordx4 v[61:64], v69, s[8:9]
	global_load_dwordx4 v[65:68], v69, s[8:9] offset:16
	global_load_dwordx4 v[69:72], v69, s[8:9] offset:32
	s_waitcnt vmcnt(0) lgkmcnt(0)
	s_barrier
	buffer_gl0_inv
	v_mul_f64 v[75:76], v[42:43], v[55:56]
	v_mul_f64 v[73:74], v[38:39], v[51:52]
	;; [unrolled: 1-line block ×12, first 2 shown]
	v_fma_f64 v[40:41], v[40:41], v[53:54], -v[75:76]
	v_fma_f64 v[36:37], v[36:37], v[49:50], -v[73:74]
	v_fma_f64 v[38:39], v[38:39], v[49:50], v[51:52]
	v_fma_f64 v[42:43], v[42:43], v[53:54], v[55:56]
	v_fma_f64 v[44:45], v[44:45], v[57:58], -v[77:78]
	v_fma_f64 v[46:47], v[46:47], v[57:58], v[59:60]
	v_fma_f64 v[24:25], v[24:25], v[61:62], -v[79:80]
	;; [unrolled: 2-line block ×4, first 2 shown]
	v_fma_f64 v[34:35], v[34:35], v[69:70], v[71:72]
	v_add_f64 v[40:41], v[16:17], -v[40:41]
	v_add_f64 v[42:43], v[18:19], -v[42:43]
	;; [unrolled: 1-line block ×8, first 2 shown]
	v_fma_f64 v[53:54], v[16:17], 2.0, -v[40:41]
	v_mov_b32_e32 v16, 4
	v_fma_f64 v[55:56], v[18:19], 2.0, -v[42:43]
	v_fma_f64 v[33:34], v[36:37], 2.0, -v[44:45]
	;; [unrolled: 1-line block ×3, first 2 shown]
	v_add_f64 v[17:18], v[40:41], -v[46:47]
	v_and_b32_e32 v46, 0xffff, v90
	v_fma_f64 v[57:58], v[20:21], 2.0, -v[49:50]
	v_fma_f64 v[59:60], v[22:23], 2.0, -v[51:52]
	;; [unrolled: 1-line block ×4, first 2 shown]
	v_add_f64 v[19:20], v[42:43], v[44:45]
	v_add_f64 v[21:22], v[49:50], -v[31:32]
	v_add_f64 v[23:24], v[51:52], v[29:30]
	v_and_b32_e32 v45, 0xffff, v83
	v_lshlrev_b32_sdwa v47, v16, v91 dst_sel:DWORD dst_unused:UNUSED_PAD src0_sel:DWORD src1_sel:BYTE_0
	v_mad_u32_u24 v46, 0x440, v46, 0
	v_mad_u32_u24 v45, 0x440, v45, 0
	v_add3_u32 v45, v45, v47, v219
	v_add_f64 v[25:26], v[53:54], -v[33:34]
	v_add_f64 v[27:28], v[55:56], -v[35:36]
	v_fma_f64 v[33:34], v[40:41], 2.0, -v[17:18]
	v_add_f64 v[29:30], v[57:58], -v[37:38]
	v_add_f64 v[31:32], v[59:60], -v[61:62]
	v_fma_f64 v[35:36], v[42:43], 2.0, -v[19:20]
	v_fma_f64 v[37:38], v[49:50], 2.0, -v[21:22]
	;; [unrolled: 1-line block ×5, first 2 shown]
	v_lshlrev_b32_sdwa v53, v16, v92 dst_sel:DWORD dst_unused:UNUSED_PAD src0_sel:DWORD src1_sel:BYTE_0
	v_fma_f64 v[49:50], v[57:58], 2.0, -v[29:30]
	v_fma_f64 v[51:52], v[59:60], 2.0, -v[31:32]
	v_add3_u32 v46, v46, v53, v219
	ds_write_b128 v45, v[17:20] offset:816
	ds_write_b128 v45, v[33:36] offset:272
	;; [unrolled: 1-line block ×3, first 2 shown]
	ds_write_b128 v45, v[41:44]
	ds_write_b128 v46, v[37:40] offset:272
	ds_write_b128 v46, v[29:32] offset:544
	ds_write_b128 v46, v[49:52]
	ds_write_b128 v46, v[21:24] offset:816
	s_and_saveexec_b32 s1, s0
	s_cbranch_execz .LBB0_16
; %bb.15:
	v_add_nc_u16 v17, v84, 0x88
	v_and_b32_e32 v18, 0xff, v17
	v_mul_lo_u16 v18, 0xf1, v18
	v_lshrrev_b16 v35, 12, v18
	v_mul_lo_u16 v18, v35, 17
	v_sub_nc_u16 v36, v17, v18
	v_mul_u32_u24_sdwa v17, v36, v48 dst_sel:DWORD dst_unused:UNUSED_PAD src0_sel:BYTE_0 src1_sel:DWORD
	v_lshlrev_b32_sdwa v16, v16, v36 dst_sel:DWORD dst_unused:UNUSED_PAD src0_sel:DWORD src1_sel:BYTE_0
	v_lshlrev_b32_e32 v25, 4, v17
	s_clause 0x2
	global_load_dwordx4 v[17:20], v25, s[8:9] offset:16
	global_load_dwordx4 v[21:24], v25, s[8:9]
	global_load_dwordx4 v[25:28], v25, s[8:9] offset:32
	s_waitcnt vmcnt(2)
	v_mul_f64 v[29:30], v[8:9], v[19:20]
	s_waitcnt vmcnt(1)
	v_mul_f64 v[31:32], v[6:7], v[23:24]
	v_mul_f64 v[23:24], v[4:5], v[23:24]
	s_waitcnt vmcnt(0)
	v_mul_f64 v[33:34], v[12:13], v[27:28]
	v_mul_f64 v[19:20], v[10:11], v[19:20]
	;; [unrolled: 1-line block ×3, first 2 shown]
	v_fma_f64 v[10:11], v[10:11], v[17:18], v[29:30]
	v_fma_f64 v[4:5], v[4:5], v[21:22], -v[31:32]
	v_fma_f64 v[6:7], v[6:7], v[21:22], v[23:24]
	v_fma_f64 v[14:15], v[14:15], v[25:26], v[33:34]
	v_fma_f64 v[8:9], v[8:9], v[17:18], -v[19:20]
	v_fma_f64 v[12:13], v[12:13], v[25:26], -v[27:28]
	v_add_f64 v[10:11], v[2:3], -v[10:11]
	v_add_f64 v[14:15], v[6:7], -v[14:15]
	;; [unrolled: 1-line block ×4, first 2 shown]
	v_fma_f64 v[17:18], v[2:3], 2.0, -v[10:11]
	v_fma_f64 v[6:7], v[6:7], 2.0, -v[14:15]
	;; [unrolled: 1-line block ×4, first 2 shown]
	v_add_f64 v[2:3], v[10:11], v[12:13]
	v_add_f64 v[0:1], v[8:9], -v[14:15]
	v_add_f64 v[6:7], v[17:18], -v[6:7]
	;; [unrolled: 1-line block ×3, first 2 shown]
	v_fma_f64 v[10:11], v[10:11], 2.0, -v[2:3]
	v_fma_f64 v[8:9], v[8:9], 2.0, -v[0:1]
	;; [unrolled: 1-line block ×3, first 2 shown]
	v_and_b32_e32 v17, 0xffff, v35
	v_fma_f64 v[12:13], v[19:20], 2.0, -v[4:5]
	v_mad_u32_u24 v17, 0x440, v17, 0
	v_add3_u32 v16, v17, v16, v219
	ds_write_b128 v16, v[8:11] offset:272
	ds_write_b128 v16, v[4:7] offset:544
	ds_write_b128 v16, v[12:15]
	ds_write_b128 v16, v[0:3] offset:816
.LBB0_16:
	s_or_b32 exec_lo, exec_lo, s1
	v_mul_u32_u24_e32 v0, 9, v84
	s_waitcnt lgkmcnt(0)
	s_barrier
	buffer_gl0_inv
	s_mov_b32 s0, 0x134454ff
	v_lshlrev_b32_e32 v32, 4, v0
	s_mov_b32 s1, 0x3fee6f0e
	s_mov_b32 s11, 0xbfee6f0e
	s_mov_b32 s10, s0
	s_mov_b32 s4, 0x4755a5e
	s_clause 0x8
	global_load_dwordx4 v[0:3], v32, s[8:9] offset:848
	global_load_dwordx4 v[4:7], v32, s[8:9] offset:880
	global_load_dwordx4 v[8:11], v32, s[8:9] offset:912
	global_load_dwordx4 v[12:15], v32, s[8:9] offset:944
	global_load_dwordx4 v[16:19], v32, s[8:9] offset:816
	global_load_dwordx4 v[20:23], v32, s[8:9] offset:832
	global_load_dwordx4 v[24:27], v32, s[8:9] offset:864
	global_load_dwordx4 v[28:31], v32, s[8:9] offset:896
	global_load_dwordx4 v[32:35], v32, s[8:9] offset:928
	ds_read_b128 v[36:39], v85 offset:3264
	ds_read_b128 v[40:43], v85 offset:5440
	;; [unrolled: 1-line block ×9, first 2 shown]
	s_mov_b32 s5, 0x3fe2cf23
	s_mov_b32 s13, 0xbfe2cf23
	;; [unrolled: 1-line block ×7, first 2 shown]
	s_waitcnt vmcnt(8) lgkmcnt(8)
	v_mul_f64 v[72:73], v[38:39], v[2:3]
	s_waitcnt vmcnt(7) lgkmcnt(7)
	v_mul_f64 v[74:75], v[42:43], v[6:7]
	v_mul_f64 v[6:7], v[40:41], v[6:7]
	s_waitcnt vmcnt(6) lgkmcnt(6)
	v_mul_f64 v[76:77], v[46:47], v[10:11]
	;; [unrolled: 3-line block ×3, first 2 shown]
	v_mul_f64 v[14:15], v[50:51], v[14:15]
	v_mul_f64 v[2:3], v[36:37], v[2:3]
	s_waitcnt vmcnt(4) lgkmcnt(4)
	v_mul_f64 v[80:81], v[54:55], v[18:19]
	v_mul_f64 v[18:19], v[52:53], v[18:19]
	s_waitcnt vmcnt(3) lgkmcnt(3)
	;; [unrolled: 3-line block ×5, first 2 shown]
	v_mul_f64 v[92:93], v[68:69], v[34:35]
	v_fma_f64 v[36:37], v[36:37], v[0:1], -v[72:73]
	v_fma_f64 v[40:41], v[40:41], v[4:5], -v[74:75]
	v_fma_f64 v[4:5], v[42:43], v[4:5], v[6:7]
	v_fma_f64 v[6:7], v[44:45], v[8:9], -v[76:77]
	v_fma_f64 v[8:9], v[46:47], v[8:9], v[10:11]
	v_fma_f64 v[10:11], v[50:51], v[12:13], v[78:79]
	v_fma_f64 v[12:13], v[48:49], v[12:13], -v[14:15]
	v_fma_f64 v[38:39], v[38:39], v[0:1], v[2:3]
	v_mul_f64 v[14:15], v[70:71], v[34:35]
	v_fma_f64 v[42:43], v[52:53], v[16:17], -v[80:81]
	v_fma_f64 v[16:17], v[54:55], v[16:17], v[18:19]
	v_fma_f64 v[34:35], v[56:57], v[20:21], -v[82:83]
	v_fma_f64 v[20:21], v[58:59], v[20:21], v[22:23]
	;; [unrolled: 2-line block ×4, first 2 shown]
	v_fma_f64 v[30:31], v[70:71], v[32:33], v[92:93]
	ds_read_b128 v[0:3], v216
	s_waitcnt lgkmcnt(0)
	s_barrier
	buffer_gl0_inv
	v_add_f64 v[82:83], v[36:37], -v[40:41]
	v_add_f64 v[90:91], v[40:41], -v[36:37]
	v_add_f64 v[18:19], v[40:41], v[6:7]
	v_add_f64 v[44:45], v[4:5], v[8:9]
	v_add_f64 v[58:59], v[4:5], -v[8:9]
	v_add_f64 v[48:49], v[36:37], v[12:13]
	v_add_f64 v[46:47], v[38:39], v[10:11]
	v_fma_f64 v[14:15], v[68:69], v[32:33], -v[14:15]
	v_add_f64 v[56:57], v[38:39], -v[10:11]
	v_add_f64 v[60:61], v[36:37], -v[12:13]
	;; [unrolled: 1-line block ×6, first 2 shown]
	v_add_f64 v[50:51], v[22:23], v[26:27]
	v_add_f64 v[76:77], v[24:25], v[28:29]
	;; [unrolled: 1-line block ×3, first 2 shown]
	v_add_f64 v[96:97], v[10:11], -v[8:9]
	v_add_f64 v[98:99], v[4:5], -v[38:39]
	;; [unrolled: 1-line block ×3, first 2 shown]
	v_add_f64 v[32:33], v[0:1], v[34:35]
	v_add_f64 v[74:75], v[2:3], v[20:21]
	;; [unrolled: 1-line block ×3, first 2 shown]
	v_add_f64 v[52:53], v[20:21], -v[30:31]
	v_fma_f64 v[18:19], v[18:19], -0.5, v[42:43]
	v_fma_f64 v[44:45], v[44:45], -0.5, v[16:17]
	v_add_f64 v[54:55], v[24:25], -v[28:29]
	v_fma_f64 v[48:49], v[48:49], -0.5, v[42:43]
	v_fma_f64 v[46:47], v[46:47], -0.5, v[16:17]
	v_add_f64 v[68:69], v[34:35], v[14:15]
	v_add_f64 v[16:17], v[16:17], v[38:39]
	v_add_f64 v[64:65], v[34:35], -v[22:23]
	v_add_f64 v[66:67], v[14:15], -v[26:27]
	;; [unrolled: 1-line block ×5, first 2 shown]
	v_fma_f64 v[38:39], v[50:51], -0.5, v[0:1]
	v_fma_f64 v[42:43], v[76:77], -0.5, v[2:3]
	;; [unrolled: 1-line block ×3, first 2 shown]
	v_add_f64 v[50:51], v[82:83], v[88:89]
	v_add_f64 v[76:77], v[94:95], v[96:97]
	v_add_f64 v[72:73], v[26:27], -v[14:15]
	v_add_f64 v[80:81], v[98:99], v[100:101]
	v_add_f64 v[110:111], v[20:21], -v[24:25]
	v_add_f64 v[20:21], v[24:25], -v[20:21]
	v_add_f64 v[22:23], v[32:33], v[22:23]
	v_fma_f64 v[108:109], v[56:57], s[10:11], v[18:19]
	v_fma_f64 v[102:103], v[60:61], s[10:11], v[44:45]
	;; [unrolled: 1-line block ×8, first 2 shown]
	v_fma_f64 v[0:1], v[68:69], -0.5, v[0:1]
	v_add_f64 v[68:69], v[90:91], v[92:93]
	v_add_f64 v[24:25], v[74:75], v[24:25]
	;; [unrolled: 1-line block ×4, first 2 shown]
	v_add_f64 v[112:113], v[30:31], -v[28:29]
	v_add_f64 v[32:33], v[64:65], v[66:67]
	v_fma_f64 v[16:17], v[52:53], s[0:1], v[38:39]
	v_fma_f64 v[38:39], v[52:53], s[10:11], v[38:39]
	v_add_f64 v[114:115], v[28:29], -v[30:31]
	v_add_f64 v[22:23], v[22:23], v[26:27]
	v_fma_f64 v[92:93], v[58:59], s[12:13], v[108:109]
	v_fma_f64 v[82:83], v[62:63], s[12:13], v[102:103]
	;; [unrolled: 1-line block ×14, first 2 shown]
	v_add_f64 v[56:57], v[70:71], v[72:73]
	v_add_f64 v[24:25], v[24:25], v[28:29]
	;; [unrolled: 1-line block ×4, first 2 shown]
	v_fma_f64 v[8:9], v[54:55], s[4:5], v[16:17]
	v_fma_f64 v[16:17], v[54:55], s[12:13], v[38:39]
	v_add_f64 v[20:21], v[20:21], v[114:115]
	v_add_f64 v[14:15], v[22:23], v[14:15]
	v_fma_f64 v[70:71], v[50:51], s[6:7], v[92:93]
	v_fma_f64 v[62:63], v[76:77], s[6:7], v[82:83]
	v_fma_f64 v[18:19], v[50:51], s[6:7], v[18:19]
	v_fma_f64 v[66:67], v[68:69], s[6:7], v[90:91]
	v_fma_f64 v[64:65], v[80:81], s[6:7], v[88:89]
	v_fma_f64 v[48:49], v[68:69], s[6:7], v[48:49]
	v_fma_f64 v[46:47], v[80:81], s[6:7], v[46:47]
	v_fma_f64 v[44:45], v[76:77], s[6:7], v[44:45]
	v_add_f64 v[50:51], v[110:111], v[112:113]
	v_fma_f64 v[26:27], v[52:53], s[4:5], v[40:41]
	v_fma_f64 v[0:1], v[52:53], s[12:13], v[0:1]
	;; [unrolled: 1-line block ×6, first 2 shown]
	v_add_f64 v[22:23], v[24:25], v[30:31]
	v_add_f64 v[6:7], v[6:7], v[12:13]
	;; [unrolled: 1-line block ×3, first 2 shown]
	v_fma_f64 v[24:25], v[32:33], s[6:7], v[8:9]
	v_fma_f64 v[30:31], v[32:33], s[6:7], v[16:17]
	v_mul_f64 v[52:53], v[70:71], s[14:15]
	v_mul_f64 v[34:35], v[62:63], s[4:5]
	;; [unrolled: 1-line block ×8, first 2 shown]
	v_fma_f64 v[26:27], v[56:57], s[6:7], v[26:27]
	v_fma_f64 v[32:33], v[56:57], s[6:7], v[0:1]
	;; [unrolled: 1-line block ×6, first 2 shown]
	v_add_f64 v[0:1], v[14:15], v[6:7]
	v_add_f64 v[2:3], v[22:23], v[10:11]
	v_add_f64 v[4:5], v[14:15], -v[6:7]
	v_add_f64 v[6:7], v[22:23], -v[10:11]
	v_fma_f64 v[28:29], v[18:19], s[14:15], v[34:35]
	v_fma_f64 v[36:37], v[46:47], s[0:1], -v[42:43]
	v_fma_f64 v[42:43], v[62:63], s[14:15], v[54:55]
	v_fma_f64 v[34:35], v[48:49], s[6:7], v[40:41]
	v_fma_f64 v[40:41], v[44:45], s[4:5], -v[52:53]
	v_fma_f64 v[44:45], v[64:65], s[6:7], v[58:59]
	v_fma_f64 v[46:47], v[66:67], s[10:11], -v[60:61]
	v_fma_f64 v[48:49], v[70:71], s[12:13], -v[68:69]
	s_add_u32 s1, s8, 0x2970
	s_addc_u32 s4, s9, 0
	s_mov_b32 s5, exec_lo
	v_add_f64 v[8:9], v[24:25], v[28:29]
	v_add_f64 v[24:25], v[24:25], -v[28:29]
	v_add_f64 v[16:17], v[32:33], v[36:37]
	v_add_f64 v[10:11], v[56:57], v[42:43]
	;; [unrolled: 1-line block ×7, first 2 shown]
	v_add_f64 v[28:29], v[26:27], -v[34:35]
	v_add_f64 v[26:27], v[56:57], -v[42:43]
	;; [unrolled: 1-line block ×7, first 2 shown]
	ds_write_b128 v85, v[0:3]
	ds_write_b128 v85, v[4:7] offset:5440
	ds_write_b128 v85, v[8:11] offset:1088
	;; [unrolled: 1-line block ×9, first 2 shown]
	s_waitcnt lgkmcnt(0)
	s_barrier
	buffer_gl0_inv
	ds_read_b128 v[4:7], v216
	v_sub_nc_u32_e32 v14, v218, v217
                                        ; implicit-def: $vgpr0_vgpr1
                                        ; implicit-def: $vgpr8_vgpr9
                                        ; implicit-def: $vgpr10_vgpr11
                                        ; implicit-def: $vgpr12_vgpr13
	v_cmpx_ne_u32_e32 0, v84
	s_xor_b32 s5, exec_lo, s5
	s_cbranch_execz .LBB0_18
; %bb.17:
	v_mov_b32_e32 v85, 0
                                        ; implicit-def: $vgpr218
	v_lshlrev_b64 v[0:1], 4, v[84:85]
	v_add_co_u32 v0, s0, s1, v0
	v_add_co_ci_u32_e64 v1, s0, s4, v1, s0
	global_load_dwordx4 v[15:18], v[0:1], off
	ds_read_b128 v[0:3], v14 offset:10880
	s_waitcnt lgkmcnt(0)
	v_add_f64 v[8:9], v[4:5], -v[0:1]
	v_add_f64 v[10:11], v[6:7], v[2:3]
	v_add_f64 v[2:3], v[6:7], -v[2:3]
	v_add_f64 v[0:1], v[4:5], v[0:1]
	v_mul_f64 v[6:7], v[8:9], 0.5
	v_mul_f64 v[4:5], v[10:11], 0.5
	;; [unrolled: 1-line block ×3, first 2 shown]
	s_waitcnt vmcnt(0)
	v_mul_f64 v[8:9], v[6:7], v[17:18]
	v_fma_f64 v[10:11], v[4:5], v[17:18], v[2:3]
	v_fma_f64 v[2:3], v[4:5], v[17:18], -v[2:3]
	v_fma_f64 v[12:13], v[0:1], 0.5, v[8:9]
	v_fma_f64 v[0:1], v[0:1], 0.5, -v[8:9]
	v_fma_f64 v[10:11], -v[15:16], v[6:7], v[10:11]
	v_fma_f64 v[2:3], -v[15:16], v[6:7], v[2:3]
	v_fma_f64 v[8:9], v[4:5], v[15:16], v[12:13]
	v_mov_b32_e32 v12, v84
	v_fma_f64 v[0:1], -v[4:5], v[15:16], v[0:1]
	v_mov_b32_e32 v13, v85
                                        ; implicit-def: $vgpr4_vgpr5
.LBB0_18:
	s_andn2_saveexec_b32 s0, s5
	s_cbranch_execz .LBB0_20
; %bb.19:
	ds_read_b64 v[15:16], v218 offset:5448
	s_waitcnt lgkmcnt(1)
	v_add_f64 v[8:9], v[4:5], v[6:7]
	v_add_f64 v[0:1], v[4:5], -v[6:7]
	v_mov_b32_e32 v10, 0
	v_mov_b32_e32 v11, 0
	;; [unrolled: 1-line block ×6, first 2 shown]
	s_waitcnt lgkmcnt(0)
	v_xor_b32_e32 v16, 0x80000000, v16
	ds_write_b64 v218, v[15:16] offset:5448
.LBB0_20:
	s_or_b32 exec_lo, exec_lo, s0
	s_waitcnt lgkmcnt(0)
	v_lshlrev_b64 v[4:5], 4, v[12:13]
	v_add_co_u32 v23, s0, s1, v4
	v_add_co_ci_u32_e64 v24, s0, s4, v5, s0
	v_add_co_u32 v12, s0, 0x800, v23
	global_load_dwordx4 v[15:18], v[23:24], off offset:1088
	v_add_co_ci_u32_e64 v13, s0, 0, v24, s0
	global_load_dwordx4 v[19:22], v[12:13], off offset:128
	ds_write2_b64 v216, v[8:9], v[10:11] offset1:1
	ds_write_b128 v14, v[0:3] offset:10880
	ds_read_b128 v[0:3], v216 offset:1088
	ds_read_b128 v[6:9], v14 offset:9792
	global_load_dwordx4 v[10:13], v[12:13], off offset:1216
	s_waitcnt lgkmcnt(0)
	v_add_f64 v[25:26], v[0:1], -v[6:7]
	v_add_f64 v[27:28], v[2:3], v[8:9]
	v_add_f64 v[2:3], v[2:3], -v[8:9]
	v_add_f64 v[0:1], v[0:1], v[6:7]
	v_mul_f64 v[8:9], v[25:26], 0.5
	v_mul_f64 v[25:26], v[27:28], 0.5
	;; [unrolled: 1-line block ×3, first 2 shown]
	s_waitcnt vmcnt(2)
	v_mul_f64 v[6:7], v[8:9], v[17:18]
	v_fma_f64 v[27:28], v[25:26], v[17:18], v[2:3]
	v_fma_f64 v[2:3], v[25:26], v[17:18], -v[2:3]
	v_fma_f64 v[17:18], v[0:1], 0.5, v[6:7]
	v_fma_f64 v[0:1], v[0:1], 0.5, -v[6:7]
	v_fma_f64 v[6:7], -v[15:16], v[8:9], v[27:28]
	v_fma_f64 v[2:3], -v[15:16], v[8:9], v[2:3]
	v_fma_f64 v[8:9], v[25:26], v[15:16], v[17:18]
	v_fma_f64 v[0:1], -v[25:26], v[15:16], v[0:1]
	v_add_co_u32 v15, s0, 0x1000, v23
	v_add_co_ci_u32_e64 v16, s0, 0, v24, s0
	ds_write2_b64 v216, v[8:9], v[6:7] offset0:136 offset1:137
	ds_write_b128 v14, v[0:3] offset:9792
	ds_read_b128 v[0:3], v216 offset:2176
	ds_read_b128 v[6:9], v14 offset:8704
	global_load_dwordx4 v[15:18], v[15:16], off offset:256
	s_waitcnt lgkmcnt(0)
	v_add_f64 v[23:24], v[0:1], -v[6:7]
	v_add_f64 v[25:26], v[2:3], v[8:9]
	v_add_f64 v[2:3], v[2:3], -v[8:9]
	v_add_f64 v[0:1], v[0:1], v[6:7]
	v_mul_f64 v[8:9], v[23:24], 0.5
	v_mul_f64 v[23:24], v[25:26], 0.5
	v_mul_f64 v[2:3], v[2:3], 0.5
	s_waitcnt vmcnt(2)
	v_mul_f64 v[6:7], v[8:9], v[21:22]
	v_fma_f64 v[25:26], v[23:24], v[21:22], v[2:3]
	v_fma_f64 v[2:3], v[23:24], v[21:22], -v[2:3]
	v_fma_f64 v[21:22], v[0:1], 0.5, v[6:7]
	v_fma_f64 v[0:1], v[0:1], 0.5, -v[6:7]
	v_fma_f64 v[6:7], -v[19:20], v[8:9], v[25:26]
	v_fma_f64 v[2:3], -v[19:20], v[8:9], v[2:3]
	v_fma_f64 v[8:9], v[23:24], v[19:20], v[21:22]
	v_fma_f64 v[0:1], -v[23:24], v[19:20], v[0:1]
	v_add_nc_u32_e32 v23, 0x800, v216
	ds_write2_b64 v23, v[8:9], v[6:7] offset0:16 offset1:17
	ds_write_b128 v14, v[0:3] offset:8704
	ds_read_b128 v[0:3], v216 offset:3264
	ds_read_b128 v[6:9], v14 offset:7616
	s_waitcnt lgkmcnt(0)
	v_add_f64 v[19:20], v[0:1], -v[6:7]
	v_add_f64 v[21:22], v[2:3], v[8:9]
	v_add_f64 v[2:3], v[2:3], -v[8:9]
	v_add_f64 v[0:1], v[0:1], v[6:7]
	v_mul_f64 v[8:9], v[19:20], 0.5
	v_mul_f64 v[19:20], v[21:22], 0.5
	;; [unrolled: 1-line block ×3, first 2 shown]
	s_waitcnt vmcnt(1)
	v_mul_f64 v[6:7], v[8:9], v[12:13]
	v_fma_f64 v[21:22], v[19:20], v[12:13], v[2:3]
	v_fma_f64 v[2:3], v[19:20], v[12:13], -v[2:3]
	v_fma_f64 v[12:13], v[0:1], 0.5, v[6:7]
	v_fma_f64 v[0:1], v[0:1], 0.5, -v[6:7]
	v_fma_f64 v[6:7], -v[10:11], v[8:9], v[21:22]
	v_fma_f64 v[2:3], -v[10:11], v[8:9], v[2:3]
	v_fma_f64 v[8:9], v[19:20], v[10:11], v[12:13]
	v_fma_f64 v[0:1], -v[19:20], v[10:11], v[0:1]
	ds_write2_b64 v23, v[8:9], v[6:7] offset0:152 offset1:153
	ds_write_b128 v14, v[0:3] offset:7616
	ds_read_b128 v[0:3], v216 offset:4352
	ds_read_b128 v[6:9], v14 offset:6528
	s_waitcnt lgkmcnt(0)
	v_add_f64 v[10:11], v[0:1], -v[6:7]
	v_add_f64 v[12:13], v[2:3], v[8:9]
	v_add_f64 v[2:3], v[2:3], -v[8:9]
	v_add_f64 v[0:1], v[0:1], v[6:7]
	v_mul_f64 v[8:9], v[10:11], 0.5
	v_mul_f64 v[10:11], v[12:13], 0.5
	;; [unrolled: 1-line block ×3, first 2 shown]
	s_waitcnt vmcnt(0)
	v_mul_f64 v[6:7], v[8:9], v[17:18]
	v_fma_f64 v[12:13], v[10:11], v[17:18], v[2:3]
	v_fma_f64 v[2:3], v[10:11], v[17:18], -v[2:3]
	v_fma_f64 v[17:18], v[0:1], 0.5, v[6:7]
	v_fma_f64 v[0:1], v[0:1], 0.5, -v[6:7]
	v_fma_f64 v[6:7], -v[15:16], v[8:9], v[12:13]
	v_fma_f64 v[2:3], -v[15:16], v[8:9], v[2:3]
	v_fma_f64 v[8:9], v[10:11], v[15:16], v[17:18]
	v_fma_f64 v[0:1], -v[10:11], v[15:16], v[0:1]
	v_add_nc_u32_e32 v10, 0x1000, v216
	ds_write2_b64 v10, v[8:9], v[6:7] offset0:32 offset1:33
	ds_write_b128 v14, v[0:3] offset:6528
	s_waitcnt lgkmcnt(0)
	s_barrier
	buffer_gl0_inv
	s_and_saveexec_b32 s0, vcc_lo
	s_cbranch_execz .LBB0_23
; %bb.21:
	ds_read_b128 v[6:9], v216
	ds_read_b128 v[10:13], v216 offset:1088
	ds_read_b128 v[14:17], v216 offset:2176
	;; [unrolled: 1-line block ×4, first 2 shown]
	v_add_co_u32 v0, vcc_lo, s2, v86
	v_add_co_ci_u32_e32 v1, vcc_lo, s3, v87, vcc_lo
	v_add_co_u32 v42, vcc_lo, v0, v4
	v_add_co_ci_u32_e32 v43, vcc_lo, v1, v5, vcc_lo
	ds_read_b128 v[2:5], v216 offset:5440
	ds_read_b128 v[26:29], v216 offset:6528
	;; [unrolled: 1-line block ×5, first 2 shown]
	v_add_co_u32 v44, vcc_lo, 0x800, v42
	v_add_co_ci_u32_e32 v45, vcc_lo, 0, v43, vcc_lo
	v_add_co_u32 v46, vcc_lo, 0x1000, v42
	v_add_co_ci_u32_e32 v47, vcc_lo, 0, v43, vcc_lo
	s_waitcnt lgkmcnt(9)
	global_store_dwordx4 v[42:43], v[6:9], off
	s_waitcnt lgkmcnt(8)
	global_store_dwordx4 v[42:43], v[10:13], off offset:1088
	s_waitcnt lgkmcnt(7)
	global_store_dwordx4 v[44:45], v[14:17], off offset:128
	;; [unrolled: 2-line block ×4, first 2 shown]
	v_add_co_u32 v6, vcc_lo, 0x1800, v42
	v_add_co_ci_u32_e32 v7, vcc_lo, 0, v43, vcc_lo
	v_add_co_u32 v8, vcc_lo, 0x2000, v42
	v_add_co_ci_u32_e32 v9, vcc_lo, 0, v43, vcc_lo
	v_cmp_eq_u32_e32 vcc_lo, 0x43, v84
	s_waitcnt lgkmcnt(4)
	global_store_dwordx4 v[46:47], v[2:5], off offset:1344
	s_waitcnt lgkmcnt(3)
	global_store_dwordx4 v[6:7], v[26:29], off offset:384
	s_waitcnt lgkmcnt(2)
	global_store_dwordx4 v[6:7], v[30:33], off offset:1472
	s_waitcnt lgkmcnt(1)
	global_store_dwordx4 v[8:9], v[34:37], off offset:512
	s_waitcnt lgkmcnt(0)
	global_store_dwordx4 v[8:9], v[38:41], off offset:1600
	s_and_b32 exec_lo, exec_lo, vcc_lo
	s_cbranch_execz .LBB0_23
; %bb.22:
	ds_read_b128 v[2:5], v216 offset:9808
	v_add_co_u32 v0, vcc_lo, 0x2800, v0
	v_add_co_ci_u32_e32 v1, vcc_lo, 0, v1, vcc_lo
	s_waitcnt lgkmcnt(0)
	global_store_dwordx4 v[0:1], v[2:5], off offset:640
.LBB0_23:
	s_endpgm
	.section	.rodata,"a",@progbits
	.p2align	6, 0x0
	.amdhsa_kernel fft_rtc_fwd_len680_factors_17_4_10_wgs_204_tpt_68_halfLds_dp_ip_CI_unitstride_sbrr_R2C_dirReg
		.amdhsa_group_segment_fixed_size 0
		.amdhsa_private_segment_fixed_size 0
		.amdhsa_kernarg_size 88
		.amdhsa_user_sgpr_count 6
		.amdhsa_user_sgpr_private_segment_buffer 1
		.amdhsa_user_sgpr_dispatch_ptr 0
		.amdhsa_user_sgpr_queue_ptr 0
		.amdhsa_user_sgpr_kernarg_segment_ptr 1
		.amdhsa_user_sgpr_dispatch_id 0
		.amdhsa_user_sgpr_flat_scratch_init 0
		.amdhsa_user_sgpr_private_segment_size 0
		.amdhsa_wavefront_size32 1
		.amdhsa_uses_dynamic_stack 0
		.amdhsa_system_sgpr_private_segment_wavefront_offset 0
		.amdhsa_system_sgpr_workgroup_id_x 1
		.amdhsa_system_sgpr_workgroup_id_y 0
		.amdhsa_system_sgpr_workgroup_id_z 0
		.amdhsa_system_sgpr_workgroup_info 0
		.amdhsa_system_vgpr_workitem_id 0
		.amdhsa_next_free_vgpr 252
		.amdhsa_next_free_sgpr 54
		.amdhsa_reserve_vcc 1
		.amdhsa_reserve_flat_scratch 0
		.amdhsa_float_round_mode_32 0
		.amdhsa_float_round_mode_16_64 0
		.amdhsa_float_denorm_mode_32 3
		.amdhsa_float_denorm_mode_16_64 3
		.amdhsa_dx10_clamp 1
		.amdhsa_ieee_mode 1
		.amdhsa_fp16_overflow 0
		.amdhsa_workgroup_processor_mode 1
		.amdhsa_memory_ordered 1
		.amdhsa_forward_progress 0
		.amdhsa_shared_vgpr_count 0
		.amdhsa_exception_fp_ieee_invalid_op 0
		.amdhsa_exception_fp_denorm_src 0
		.amdhsa_exception_fp_ieee_div_zero 0
		.amdhsa_exception_fp_ieee_overflow 0
		.amdhsa_exception_fp_ieee_underflow 0
		.amdhsa_exception_fp_ieee_inexact 0
		.amdhsa_exception_int_div_zero 0
	.end_amdhsa_kernel
	.text
.Lfunc_end0:
	.size	fft_rtc_fwd_len680_factors_17_4_10_wgs_204_tpt_68_halfLds_dp_ip_CI_unitstride_sbrr_R2C_dirReg, .Lfunc_end0-fft_rtc_fwd_len680_factors_17_4_10_wgs_204_tpt_68_halfLds_dp_ip_CI_unitstride_sbrr_R2C_dirReg
                                        ; -- End function
	.section	.AMDGPU.csdata,"",@progbits
; Kernel info:
; codeLenInByte = 12868
; NumSgprs: 56
; NumVgprs: 252
; ScratchSize: 0
; MemoryBound: 0
; FloatMode: 240
; IeeeMode: 1
; LDSByteSize: 0 bytes/workgroup (compile time only)
; SGPRBlocks: 6
; VGPRBlocks: 31
; NumSGPRsForWavesPerEU: 56
; NumVGPRsForWavesPerEU: 252
; Occupancy: 4
; WaveLimiterHint : 1
; COMPUTE_PGM_RSRC2:SCRATCH_EN: 0
; COMPUTE_PGM_RSRC2:USER_SGPR: 6
; COMPUTE_PGM_RSRC2:TRAP_HANDLER: 0
; COMPUTE_PGM_RSRC2:TGID_X_EN: 1
; COMPUTE_PGM_RSRC2:TGID_Y_EN: 0
; COMPUTE_PGM_RSRC2:TGID_Z_EN: 0
; COMPUTE_PGM_RSRC2:TIDIG_COMP_CNT: 0
	.text
	.p2alignl 6, 3214868480
	.fill 48, 4, 3214868480
	.type	__hip_cuid_53b002a62d6a608,@object ; @__hip_cuid_53b002a62d6a608
	.section	.bss,"aw",@nobits
	.globl	__hip_cuid_53b002a62d6a608
__hip_cuid_53b002a62d6a608:
	.byte	0                               ; 0x0
	.size	__hip_cuid_53b002a62d6a608, 1

	.ident	"AMD clang version 19.0.0git (https://github.com/RadeonOpenCompute/llvm-project roc-6.4.0 25133 c7fe45cf4b819c5991fe208aaa96edf142730f1d)"
	.section	".note.GNU-stack","",@progbits
	.addrsig
	.addrsig_sym __hip_cuid_53b002a62d6a608
	.amdgpu_metadata
---
amdhsa.kernels:
  - .args:
      - .actual_access:  read_only
        .address_space:  global
        .offset:         0
        .size:           8
        .value_kind:     global_buffer
      - .offset:         8
        .size:           8
        .value_kind:     by_value
      - .actual_access:  read_only
        .address_space:  global
        .offset:         16
        .size:           8
        .value_kind:     global_buffer
      - .actual_access:  read_only
        .address_space:  global
        .offset:         24
        .size:           8
        .value_kind:     global_buffer
      - .offset:         32
        .size:           8
        .value_kind:     by_value
      - .actual_access:  read_only
        .address_space:  global
        .offset:         40
        .size:           8
        .value_kind:     global_buffer
      - .actual_access:  read_only
        .address_space:  global
        .offset:         48
        .size:           8
        .value_kind:     global_buffer
      - .offset:         56
        .size:           4
        .value_kind:     by_value
      - .actual_access:  read_only
        .address_space:  global
        .offset:         64
        .size:           8
        .value_kind:     global_buffer
      - .actual_access:  read_only
        .address_space:  global
        .offset:         72
        .size:           8
        .value_kind:     global_buffer
      - .address_space:  global
        .offset:         80
        .size:           8
        .value_kind:     global_buffer
    .group_segment_fixed_size: 0
    .kernarg_segment_align: 8
    .kernarg_segment_size: 88
    .language:       OpenCL C
    .language_version:
      - 2
      - 0
    .max_flat_workgroup_size: 204
    .name:           fft_rtc_fwd_len680_factors_17_4_10_wgs_204_tpt_68_halfLds_dp_ip_CI_unitstride_sbrr_R2C_dirReg
    .private_segment_fixed_size: 0
    .sgpr_count:     56
    .sgpr_spill_count: 0
    .symbol:         fft_rtc_fwd_len680_factors_17_4_10_wgs_204_tpt_68_halfLds_dp_ip_CI_unitstride_sbrr_R2C_dirReg.kd
    .uniform_work_group_size: 1
    .uses_dynamic_stack: false
    .vgpr_count:     252
    .vgpr_spill_count: 0
    .wavefront_size: 32
    .workgroup_processor_mode: 1
amdhsa.target:   amdgcn-amd-amdhsa--gfx1030
amdhsa.version:
  - 1
  - 2
...

	.end_amdgpu_metadata
